;; amdgpu-corpus repo=ROCm/rocFFT kind=compiled arch=gfx1030 opt=O3
	.text
	.amdgcn_target "amdgcn-amd-amdhsa--gfx1030"
	.amdhsa_code_object_version 6
	.protected	bluestein_single_fwd_len1904_dim1_dp_op_CI_CI ; -- Begin function bluestein_single_fwd_len1904_dim1_dp_op_CI_CI
	.globl	bluestein_single_fwd_len1904_dim1_dp_op_CI_CI
	.p2align	8
	.type	bluestein_single_fwd_len1904_dim1_dp_op_CI_CI,@function
bluestein_single_fwd_len1904_dim1_dp_op_CI_CI: ; @bluestein_single_fwd_len1904_dim1_dp_op_CI_CI
; %bb.0:
	v_mul_u32_u24_e32 v1, 0x227, v0
	s_mov_b64 s[62:63], s[2:3]
	s_mov_b64 s[60:61], s[0:1]
	s_load_dwordx4 s[0:3], s[4:5], 0x28
	s_add_u32 s60, s60, s7
	v_lshrrev_b32_e32 v1, 16, v1
	s_addc_u32 s61, s61, 0
	v_mov_b32_e32 v4, 0
	v_add_nc_u32_e32 v3, s6, v1
	v_mov_b32_e32 v2, v3
	buffer_store_dword v2, off, s[60:63], 0 ; 4-byte Folded Spill
	buffer_store_dword v3, off, s[60:63], 0 offset:4 ; 4-byte Folded Spill
	s_waitcnt lgkmcnt(0)
	v_cmp_gt_u64_e32 vcc_lo, s[0:1], v[3:4]
	s_and_saveexec_b32 s0, vcc_lo
	s_cbranch_execz .LBB0_23
; %bb.1:
	v_mul_lo_u16 v1, 0x77, v1
	s_clause 0x1
	s_load_dwordx2 s[12:13], s[4:5], 0x0
	s_load_dwordx2 s[14:15], s[4:5], 0x38
	v_sub_nc_u16 v0, v0, v1
	v_and_b32_e32 v208, 0xffff, v0
	v_cmp_gt_u16_e32 vcc_lo, 0x70, v0
	v_or_b32_e32 v0, 0x380, v208
	v_lshlrev_b32_e32 v118, 4, v208
	buffer_store_dword v0, off, s[60:63], 0 offset:532 ; 4-byte Folded Spill
	v_or_b32_e32 v0, 0x700, v208
	buffer_store_dword v0, off, s[60:63], 0 offset:528 ; 4-byte Folded Spill
	s_and_saveexec_b32 s1, vcc_lo
	s_cbranch_execz .LBB0_3
; %bb.2:
	s_load_dwordx2 s[6:7], s[4:5], 0x18
	s_waitcnt lgkmcnt(0)
	s_clause 0x1
	global_load_dwordx4 v[0:3], v118, s[12:13]
	global_load_dwordx4 v[4:7], v118, s[12:13] offset:1792
	v_add_co_u32 v8, s0, s12, v118
	v_add_co_ci_u32_e64 v9, null, s13, 0, s0
	v_or_b32_e32 v41, 0x380, v208
	v_add_co_u32 v10, s0, 0x800, v8
	v_add_co_ci_u32_e64 v11, s0, 0, v9, s0
	v_add_co_u32 v14, s0, 0x1000, v8
	v_add_co_ci_u32_e64 v15, s0, 0, v9, s0
	;; [unrolled: 2-line block ×3, first 2 shown]
	v_add_co_u32 v22, s0, 0x2000, v8
	s_load_dwordx4 s[8:11], s[6:7], 0x0
	s_clause 0x1
	buffer_load_dword v12, off, s[60:63], 0
	buffer_load_dword v13, off, s[60:63], 0 offset:4
	v_add_co_ci_u32_e64 v23, s0, 0, v9, s0
	v_add_co_u32 v26, s0, 0x2800, v8
	v_add_co_ci_u32_e64 v27, s0, 0, v9, s0
	v_add_co_u32 v34, s0, 0x3000, v8
	;; [unrolled: 2-line block ×4, first 2 shown]
	v_add_co_ci_u32_e64 v43, s0, 0, v9, s0
	s_waitcnt lgkmcnt(0)
	v_mad_u64_u32 v[32:33], null, s8, v208, 0
	s_mul_i32 s6, s9, 0x700
	s_mul_hi_u32 s7, s8, 0x700
	v_or_b32_e32 v40, 0x700, v208
	s_add_i32 s7, s7, s6
	v_lshlrev_b32_e32 v48, 4, v41
	s_waitcnt vmcnt(0)
	v_mov_b32_e32 v13, v33
	v_mad_u64_u32 v[44:45], null, s8, v40, 0
	v_lshlrev_b32_e32 v94, 4, v40
	v_mad_u64_u32 v[36:37], null, s9, v208, v[13:14]
	v_mov_b32_e32 v33, v36
	v_mad_u64_u32 v[36:37], null, s8, v41, 0
	v_lshlrev_b64 v[32:33], 4, v[32:33]
	v_mov_b32_e32 v16, v12
	v_mad_u64_u32 v[30:31], null, s10, v16, 0
	s_mul_i32 s10, s8, 0x700
	v_mov_b32_e32 v12, v31
	v_mad_u64_u32 v[20:21], null, s11, v16, v[12:13]
	s_clause 0x1
	global_load_dwordx4 v[10:13], v[10:11], off offset:1536
	global_load_dwordx4 v[14:17], v[14:15], off offset:1280
	v_mov_b32_e32 v31, v20
	s_clause 0x2
	global_load_dwordx4 v[18:21], v[18:19], off offset:1024
	global_load_dwordx4 v[22:25], v[22:23], off offset:768
	;; [unrolled: 1-line block ×3, first 2 shown]
	v_lshlrev_b64 v[30:31], 4, v[30:31]
	v_add_co_u32 v49, s0, s2, v30
	v_add_co_ci_u32_e64 v51, s0, s3, v31, s0
	v_mov_b32_e32 v30, v37
	v_add_co_u32 v54, s0, v49, v32
	v_add_co_ci_u32_e64 v55, s0, v51, v33, s0
	v_mov_b32_e32 v31, v45
	v_add_co_u32 v58, s0, v54, s10
	v_add_co_ci_u32_e64 v59, s0, s7, v55, s0
	v_mad_u64_u32 v[32:33], null, s9, v41, v[30:31]
	v_add_co_u32 v62, s0, v58, s10
	v_add_co_ci_u32_e64 v63, s0, s7, v59, s0
	v_add_co_u32 v66, s0, v62, s10
	v_add_co_ci_u32_e64 v67, s0, s7, v63, s0
	v_mad_u64_u32 v[40:41], null, s9, v40, v[31:32]
	v_add_co_u32 v70, s0, v66, s10
	v_add_co_ci_u32_e64 v71, s0, s7, v67, s0
	v_mov_b32_e32 v37, v32
	v_add_co_u32 v74, s0, v70, s10
	v_add_co_ci_u32_e64 v75, s0, s7, v71, s0
	global_load_dwordx4 v[30:33], v[34:35], off offset:256
	v_add_co_u32 v78, s0, v74, s10
	v_add_co_ci_u32_e64 v79, s0, s7, v75, s0
	v_mov_b32_e32 v45, v40
	v_add_co_u32 v82, s0, v78, s10
	v_add_co_ci_u32_e64 v83, s0, s7, v79, s0
	v_lshlrev_b64 v[46:47], 4, v[36:37]
	s_clause 0x1
	global_load_dwordx4 v[34:37], v48, s[12:13]
	global_load_dwordx4 v[38:41], v[38:39], off offset:1792
	v_lshlrev_b64 v[44:45], 4, v[44:45]
	v_mad_u64_u32 v[86:87], null, 0xe00, s8, v[82:83]
	v_add_co_u32 v46, s0, v49, v46
	v_add_co_ci_u32_e64 v47, s0, v51, v47, s0
	v_add_co_u32 v50, s0, v49, v44
	v_mov_b32_e32 v48, v87
	v_add_co_ci_u32_e64 v51, s0, v51, v45, s0
	v_add_co_u32 v98, s0, v86, s10
	v_mad_u64_u32 v[72:73], null, 0xe00, s9, v[48:49]
	global_load_dwordx4 v[42:45], v[42:43], off offset:1536
	s_clause 0x5
	global_load_dwordx4 v[46:49], v[46:47], off
	global_load_dwordx4 v[50:53], v[50:51], off
	;; [unrolled: 1-line block ×6, first 2 shown]
	v_mov_b32_e32 v87, v72
	global_load_dwordx4 v[70:73], v[70:71], off
	v_add_co_ci_u32_e64 v99, s0, s7, v87, s0
	global_load_dwordx4 v[74:77], v[74:75], off
	global_load_dwordx4 v[78:81], v[78:79], off
	;; [unrolled: 1-line block ×5, first 2 shown]
	global_load_dwordx4 v[94:97], v94, s[12:13]
	v_add_co_u32 v98, s0, v98, s10
	v_add_co_ci_u32_e64 v99, s0, s7, v99, s0
	v_add_co_u32 v102, s0, 0x4800, v8
	v_add_co_ci_u32_e64 v103, s0, 0, v9, s0
	;; [unrolled: 2-line block ×9, first 2 shown]
	v_add_co_u32 v135, s0, v123, s10
	global_load_dwordx4 v[98:101], v[98:99], off
	global_load_dwordx4 v[102:105], v[102:103], off offset:1280
	global_load_dwordx4 v[106:109], v[106:107], off
	global_load_dwordx4 v[110:113], v[110:111], off offset:1024
	global_load_dwordx4 v[114:117], v[119:120], off
	v_add_co_ci_u32_e64 v136, s0, s7, v124, s0
	global_load_dwordx4 v[119:122], v[121:122], off offset:768
	global_load_dwordx4 v[123:126], v[123:124], off
	s_clause 0x1
	global_load_dwordx4 v[127:130], v[127:128], off offset:512
	global_load_dwordx4 v[131:134], v[8:9], off offset:256
	global_load_dwordx4 v[135:138], v[135:136], off
	s_waitcnt vmcnt(22)
	v_mul_f64 v[139:140], v[48:49], v[36:37]
	v_mul_f64 v[36:37], v[46:47], v[36:37]
	s_waitcnt vmcnt(20)
	v_mul_f64 v[8:9], v[56:57], v[2:3]
	v_mul_f64 v[2:3], v[54:55], v[2:3]
	;; [unrolled: 3-line block ×7, first 2 shown]
	v_fma_f64 v[6:7], v[54:55], v[0:1], v[8:9]
	v_fma_f64 v[8:9], v[56:57], v[0:1], -v[2:3]
	v_fma_f64 v[0:1], v[46:47], v[34:35], v[139:140]
	v_fma_f64 v[2:3], v[48:49], v[34:35], -v[36:37]
	;; [unrolled: 2-line block ×3, first 2 shown]
	v_mul_f64 v[4:5], v[80:81], v[28:29]
	v_mul_f64 v[28:29], v[78:79], v[28:29]
	v_fma_f64 v[46:47], v[62:63], v[10:11], v[147:148]
	v_fma_f64 v[48:49], v[64:65], v[10:11], -v[149:150]
	v_mul_f64 v[10:11], v[84:85], v[32:33]
	v_mul_f64 v[32:33], v[82:83], v[32:33]
	v_fma_f64 v[54:55], v[66:67], v[14:15], v[151:152]
	v_fma_f64 v[56:57], v[68:69], v[14:15], -v[16:17]
	v_mul_f64 v[14:15], v[88:89], v[40:41]
	v_mul_f64 v[40:41], v[86:87], v[40:41]
	v_fma_f64 v[12:13], v[50:51], v[94:95], v[141:142]
	v_mul_f64 v[50:51], v[76:77], v[24:25]
	v_mul_f64 v[24:25], v[74:75], v[24:25]
	;; [unrolled: 1-line block ×4, first 2 shown]
	v_fma_f64 v[16:17], v[70:71], v[18:19], v[153:154]
	v_fma_f64 v[18:19], v[72:73], v[18:19], -v[20:21]
	s_waitcnt vmcnt(8)
	v_mul_f64 v[64:65], v[100:101], v[104:105]
	v_mul_f64 v[66:67], v[98:99], v[104:105]
	s_waitcnt vmcnt(6)
	v_mul_f64 v[68:69], v[108:109], v[112:113]
	v_mul_f64 v[104:105], v[106:107], v[112:113]
	;; [unrolled: 3-line block ×5, first 2 shown]
	v_fma_f64 v[20:21], v[74:75], v[22:23], v[50:51]
	v_fma_f64 v[22:23], v[76:77], v[22:23], -v[24:25]
	v_fma_f64 v[24:25], v[78:79], v[26:27], v[4:5]
	v_fma_f64 v[26:27], v[80:81], v[26:27], -v[28:29]
	;; [unrolled: 2-line block ×5, first 2 shown]
	v_fma_f64 v[14:15], v[52:53], v[94:95], -v[96:97]
	v_fma_f64 v[42:43], v[98:99], v[102:103], v[64:65]
	v_fma_f64 v[44:45], v[100:101], v[102:103], -v[66:67]
	v_fma_f64 v[62:63], v[106:107], v[110:111], v[68:69]
	;; [unrolled: 2-line block ×5, first 2 shown]
	v_fma_f64 v[76:77], v[137:138], v[131:132], -v[133:134]
	ds_write_b128 v118, v[6:9]
	ds_write_b128 v118, v[0:3] offset:14336
	ds_write_b128 v118, v[34:37] offset:1792
	;; [unrolled: 1-line block ×16, first 2 shown]
.LBB0_3:
	s_or_b32 exec_lo, exec_lo, s1
	s_clause 0x1
	s_load_dwordx2 s[0:1], s[4:5], 0x20
	s_load_dwordx2 s[2:3], s[4:5], 0x8
	s_waitcnt lgkmcnt(0)
	s_waitcnt_vscnt null, 0x0
	s_barrier
	buffer_gl0_inv
                                        ; implicit-def: $vgpr0_vgpr1
                                        ; implicit-def: $vgpr52_vgpr53
                                        ; implicit-def: $vgpr44_vgpr45
                                        ; implicit-def: $vgpr40_vgpr41
                                        ; implicit-def: $vgpr32_vgpr33
                                        ; implicit-def: $vgpr24_vgpr25
                                        ; implicit-def: $vgpr20_vgpr21
                                        ; implicit-def: $vgpr8_vgpr9
                                        ; implicit-def: $vgpr4_vgpr5
                                        ; implicit-def: $vgpr12_vgpr13
                                        ; implicit-def: $vgpr16_vgpr17
                                        ; implicit-def: $vgpr28_vgpr29
                                        ; implicit-def: $vgpr36_vgpr37
                                        ; implicit-def: $vgpr48_vgpr49
                                        ; implicit-def: $vgpr56_vgpr57
                                        ; implicit-def: $vgpr60_vgpr61
                                        ; implicit-def: $vgpr64_vgpr65
	s_and_saveexec_b32 s4, vcc_lo
	s_cbranch_execz .LBB0_5
; %bb.4:
	ds_read_b128 v[0:3], v118
	ds_read_b128 v[64:67], v118 offset:1792
	ds_read_b128 v[60:63], v118 offset:3584
	ds_read_b128 v[52:55], v118 offset:5376
	ds_read_b128 v[44:47], v118 offset:7168
	ds_read_b128 v[56:59], v118 offset:8960
	ds_read_b128 v[48:51], v118 offset:10752
	ds_read_b128 v[40:43], v118 offset:12544
	ds_read_b128 v[32:35], v118 offset:14336
	ds_read_b128 v[36:39], v118 offset:16128
	ds_read_b128 v[28:31], v118 offset:17920
	ds_read_b128 v[24:27], v118 offset:19712
	ds_read_b128 v[20:23], v118 offset:21504
	ds_read_b128 v[16:19], v118 offset:23296
	ds_read_b128 v[12:15], v118 offset:25088
	ds_read_b128 v[8:11], v118 offset:26880
	ds_read_b128 v[4:7], v118 offset:28672
.LBB0_5:
	s_or_b32 exec_lo, exec_lo, s4
	s_waitcnt lgkmcnt(0)
	v_add_f64 v[158:159], v[66:67], -v[6:7]
	v_add_f64 v[162:163], v[64:65], -v[4:5]
	s_mov_b32 s4, 0x5d8e7cdc
	s_mov_b32 s5, 0xbfd71e95
	v_add_f64 v[156:157], v[4:5], v[64:65]
	v_add_f64 v[164:165], v[6:7], v[66:67]
	v_add_f64 v[102:103], v[62:63], -v[10:11]
	v_add_f64 v[68:69], v[60:61], -v[8:9]
	s_mov_b32 s6, 0x370991
	s_mov_b32 s8, 0x2a9d6da3
	;; [unrolled: 1-line block ×4, first 2 shown]
	v_add_f64 v[70:71], v[8:9], v[60:61]
	v_add_f64 v[106:107], v[10:11], v[62:63]
	v_add_f64 v[110:111], v[54:55], -v[14:15]
	v_add_f64 v[72:73], v[52:53], -v[12:13]
	s_mov_b32 s10, 0x75d4884
	s_mov_b32 s16, 0x7c9e640b
	;; [unrolled: 1-line block ×4, first 2 shown]
	v_add_f64 v[74:75], v[52:53], v[12:13]
	v_add_f64 v[112:113], v[54:55], v[14:15]
	v_mul_f64 v[160:161], v[158:159], s[4:5]
	v_mul_f64 v[166:167], v[162:163], s[4:5]
	v_add_f64 v[80:81], v[44:45], -v[16:17]
	v_add_f64 v[114:115], v[46:47], -v[18:19]
	s_mov_b32 s18, 0x2b2883cd
	s_mov_b32 s36, 0xeb564b22
	v_mul_f64 v[128:129], v[102:103], s[8:9]
	v_mul_f64 v[130:131], v[68:69], s[8:9]
	s_mov_b32 s19, 0x3fdc86fa
	s_mov_b32 s37, 0xbfefdd0d
	v_add_f64 v[82:83], v[44:45], v[16:17]
	v_add_f64 v[116:117], v[46:47], v[18:19]
	v_add_f64 v[84:85], v[56:57], -v[20:21]
	v_add_f64 v[168:169], v[58:59], -v[22:23]
	v_mul_f64 v[132:133], v[110:111], s[16:17]
	v_mul_f64 v[134:135], v[72:73], s[16:17]
	s_mov_b32 s20, 0x3259b75e
	s_mov_b32 s24, 0x923c349f
	;; [unrolled: 1-line block ×4, first 2 shown]
	v_add_f64 v[120:121], v[22:23], v[58:59]
	v_add_f64 v[122:123], v[50:51], -v[26:27]
	v_fma_f64 v[76:77], v[156:157], s[6:7], v[160:161]
	v_fma_f64 v[78:79], v[164:165], s[6:7], -v[166:167]
	v_mul_f64 v[138:139], v[80:81], s[36:37]
	v_mul_f64 v[136:137], v[114:115], s[36:37]
	s_mov_b32 s28, 0xc61f0d01
	s_mov_b32 s22, 0x6c9a05f6
	v_fma_f64 v[86:87], v[70:71], s[10:11], v[128:129]
	v_fma_f64 v[88:89], v[106:107], s[10:11], -v[130:131]
	s_mov_b32 s29, 0xbfd183b1
	s_mov_b32 s23, 0xbfe9895b
	v_add_f64 v[124:125], v[26:27], v[50:51]
	v_add_f64 v[100:101], v[42:43], -v[30:31]
	v_mul_f64 v[142:143], v[84:85], s[24:25]
	v_mul_f64 v[140:141], v[168:169], s[24:25]
	v_fma_f64 v[90:91], v[74:75], s[18:19], v[132:133]
	v_fma_f64 v[92:93], v[112:113], s[18:19], -v[134:135]
	s_mov_b32 s26, 0x6ed5f1bb
	s_mov_b32 s30, 0x4363dd80
	;; [unrolled: 1-line block ×4, first 2 shown]
	v_add_f64 v[126:127], v[42:43], v[30:31]
	v_mul_f64 v[144:145], v[122:123], s[22:23]
	v_add_f64 v[76:77], v[0:1], v[76:77]
	v_add_f64 v[78:79], v[2:3], v[78:79]
	v_fma_f64 v[96:97], v[116:117], s[20:21], -v[138:139]
	v_fma_f64 v[94:95], v[82:83], s[20:21], v[136:137]
	v_add_f64 v[104:105], v[34:35], -v[38:39]
	s_mov_b32 s34, 0x910ea3b9
	s_mov_b32 s40, 0xacd6c6b4
	;; [unrolled: 1-line block ×6, first 2 shown]
	v_mul_f64 v[148:149], v[100:101], s[30:31]
	v_fma_f64 v[108:109], v[120:121], s[28:29], -v[142:143]
	s_barrier
	buffer_gl0_inv
	v_add_f64 v[76:77], v[86:87], v[76:77]
	v_add_f64 v[78:79], v[88:89], v[78:79]
	;; [unrolled: 1-line block ×3, first 2 shown]
	v_add_f64 v[88:89], v[48:49], -v[24:25]
	v_mul_f64 v[152:153], v[104:105], s[40:41]
	v_add_f64 v[76:77], v[90:91], v[76:77]
	v_add_f64 v[78:79], v[92:93], v[78:79]
	;; [unrolled: 1-line block ×3, first 2 shown]
	v_add_f64 v[92:93], v[40:41], -v[28:29]
	v_mul_f64 v[146:147], v[88:89], s[22:23]
	v_fma_f64 v[98:99], v[86:87], s[28:29], v[140:141]
	v_add_f64 v[76:77], v[94:95], v[76:77]
	v_add_f64 v[78:79], v[96:97], v[78:79]
	;; [unrolled: 1-line block ×3, first 2 shown]
	v_add_f64 v[94:95], v[32:33], -v[36:37]
	v_mul_f64 v[150:151], v[92:93], s[30:31]
	v_fma_f64 v[170:171], v[90:91], s[26:27], v[144:145]
	v_fma_f64 v[172:173], v[124:125], s[26:27], -v[146:147]
	v_add_f64 v[76:77], v[98:99], v[76:77]
	v_add_f64 v[78:79], v[108:109], v[78:79]
	;; [unrolled: 1-line block ×4, first 2 shown]
	v_mul_f64 v[154:155], v[94:95], s[40:41]
	v_fma_f64 v[174:175], v[96:97], s[34:35], v[148:149]
	v_fma_f64 v[176:177], v[126:127], s[34:35], -v[150:151]
	v_add_f64 v[76:77], v[170:171], v[76:77]
	v_add_f64 v[78:79], v[172:173], v[78:79]
	v_fma_f64 v[170:171], v[98:99], s[38:39], v[152:153]
	v_fma_f64 v[172:173], v[108:109], s[38:39], -v[154:155]
	v_add_f64 v[76:77], v[174:175], v[76:77]
	v_add_f64 v[78:79], v[176:177], v[78:79]
	;; [unrolled: 1-line block ×4, first 2 shown]
	s_and_saveexec_b32 s33, vcc_lo
	s_cbranch_execz .LBB0_7
; %bb.6:
	v_add_f64 v[66:67], v[2:3], v[66:67]
	v_add_f64 v[64:65], v[0:1], v[64:65]
	s_mov_b32 s43, 0x3fc7851a
	s_mov_b32 s42, s40
	s_mov_b32 s45, 0x3fe0d888
	s_mov_b32 s44, s30
	s_mov_b32 s49, 0x3fe58eea
	s_mov_b32 s48, s8
	s_mov_b32 s47, 0x3fe9895b
	s_mov_b32 s46, s22
	s_mov_b32 s57, 0x3feec746
	s_mov_b32 s56, s24
	s_mov_b32 s51, 0x3feca52d
	s_mov_b32 s50, s16
	s_mov_b32 s53, 0x3fefdd0d
	s_mov_b32 s52, s36
	s_mov_b32 s55, 0x3fd71e95
	s_mov_b32 s54, s4
	v_mul_f64 v[182:183], v[104:105], s[52:53]
	v_mul_f64 v[180:181], v[108:109], s[20:21]
	v_add_f64 v[62:63], v[62:63], v[66:67]
	v_add_f64 v[60:61], v[60:61], v[64:65]
	v_mul_f64 v[66:67], v[156:157], s[6:7]
	v_add_f64 v[54:55], v[54:55], v[62:63]
	v_add_f64 v[52:53], v[52:53], v[60:61]
	v_add_f64 v[66:67], v[66:67], -v[160:161]
	v_add_f64 v[46:47], v[46:47], v[54:55]
	v_add_f64 v[44:45], v[44:45], v[52:53]
	;; [unrolled: 1-line block ×6, first 2 shown]
	v_mul_f64 v[48:49], v[158:159], s[16:17]
	v_mul_f64 v[50:51], v[158:159], s[8:9]
	v_add_f64 v[42:43], v[42:43], v[46:47]
	v_add_f64 v[40:41], v[40:41], v[44:45]
	v_mul_f64 v[44:45], v[158:159], s[24:25]
	v_mul_f64 v[46:47], v[158:159], s[36:37]
	v_fma_f64 v[62:63], v[156:157], s[18:19], v[48:49]
	v_fma_f64 v[48:49], v[156:157], s[18:19], -v[48:49]
	v_fma_f64 v[64:65], v[156:157], s[10:11], v[50:51]
	v_fma_f64 v[50:51], v[156:157], s[10:11], -v[50:51]
	v_add_f64 v[34:35], v[34:35], v[42:43]
	v_add_f64 v[32:33], v[32:33], v[40:41]
	v_mul_f64 v[40:41], v[158:159], s[30:31]
	v_mul_f64 v[42:43], v[158:159], s[22:23]
	v_fma_f64 v[58:59], v[156:157], s[28:29], v[44:45]
	v_fma_f64 v[44:45], v[156:157], s[28:29], -v[44:45]
	v_fma_f64 v[60:61], v[156:157], s[20:21], v[46:47]
	v_fma_f64 v[46:47], v[156:157], s[20:21], -v[46:47]
	v_add_f64 v[62:63], v[0:1], v[62:63]
	v_add_f64 v[48:49], v[0:1], v[48:49]
	v_add_f64 v[34:35], v[38:39], v[34:35]
	v_add_f64 v[32:33], v[36:37], v[32:33]
	v_mul_f64 v[38:39], v[158:159], s[40:41]
	v_fma_f64 v[54:55], v[156:157], s[34:35], v[40:41]
	v_fma_f64 v[40:41], v[156:157], s[34:35], -v[40:41]
	v_fma_f64 v[56:57], v[156:157], s[26:27], v[42:43]
	v_fma_f64 v[42:43], v[156:157], s[26:27], -v[42:43]
	v_mul_f64 v[36:37], v[164:165], s[6:7]
	v_add_f64 v[58:59], v[0:1], v[58:59]
	v_add_f64 v[44:45], v[0:1], v[44:45]
	;; [unrolled: 1-line block ×6, first 2 shown]
	v_mul_f64 v[32:33], v[164:165], s[10:11]
	v_fma_f64 v[52:53], v[156:157], s[38:39], v[38:39]
	v_fma_f64 v[38:39], v[156:157], s[38:39], -v[38:39]
	v_add_f64 v[54:55], v[0:1], v[54:55]
	v_add_f64 v[40:41], v[0:1], v[40:41]
	;; [unrolled: 1-line block ×7, first 2 shown]
	v_mul_f64 v[28:29], v[164:165], s[18:19]
	v_fma_f64 v[34:35], v[162:163], s[48:49], v[32:33]
	v_fma_f64 v[32:33], v[162:163], s[8:9], v[32:33]
	v_add_f64 v[52:53], v[0:1], v[52:53]
	v_add_f64 v[38:39], v[0:1], v[38:39]
	;; [unrolled: 1-line block ×5, first 2 shown]
	v_mul_f64 v[24:25], v[164:165], s[20:21]
	v_fma_f64 v[30:31], v[162:163], s[50:51], v[28:29]
	v_fma_f64 v[28:29], v[162:163], s[16:17], v[28:29]
	v_add_f64 v[32:33], v[2:3], v[32:33]
	v_add_f64 v[18:19], v[18:19], v[22:23]
	;; [unrolled: 1-line block ×3, first 2 shown]
	v_fma_f64 v[26:27], v[162:163], s[36:37], v[24:25]
	v_fma_f64 v[24:25], v[162:163], s[52:53], v[24:25]
	v_add_f64 v[30:31], v[2:3], v[30:31]
	v_add_f64 v[28:29], v[2:3], v[28:29]
	;; [unrolled: 1-line block ×4, first 2 shown]
	v_mul_f64 v[16:17], v[164:165], s[26:27]
	v_mul_f64 v[18:19], v[164:165], s[28:29]
	v_add_f64 v[166:167], v[2:3], v[26:27]
	v_add_f64 v[170:171], v[2:3], v[24:25]
	;; [unrolled: 1-line block ×4, first 2 shown]
	v_mul_f64 v[12:13], v[164:165], s[38:39]
	v_mul_f64 v[14:15], v[164:165], s[34:35]
	v_fma_f64 v[20:21], v[162:163], s[46:47], v[16:17]
	v_fma_f64 v[16:17], v[162:163], s[22:23], v[16:17]
	;; [unrolled: 1-line block ×4, first 2 shown]
	v_add_f64 v[6:7], v[6:7], v[10:11]
	v_add_f64 v[4:5], v[4:5], v[8:9]
	v_fma_f64 v[8:9], v[162:163], s[42:43], v[12:13]
	v_fma_f64 v[10:11], v[162:163], s[40:41], v[12:13]
	;; [unrolled: 1-line block ×4, first 2 shown]
	v_add_f64 v[158:159], v[2:3], v[20:21]
	v_add_f64 v[160:161], v[2:3], v[16:17]
	;; [unrolled: 1-line block ×7, first 2 shown]
	v_mul_f64 v[16:17], v[112:113], s[34:35]
	v_add_f64 v[164:165], v[2:3], v[18:19]
	v_add_f64 v[8:9], v[2:3], v[8:9]
	;; [unrolled: 1-line block ×5, first 2 shown]
	v_mul_f64 v[14:15], v[106:107], s[6:7]
	v_fma_f64 v[18:19], v[72:73], s[44:45], v[16:17]
	v_fma_f64 v[0:1], v[68:69], s[4:5], v[14:15]
	;; [unrolled: 1-line block ×3, first 2 shown]
	v_add_f64 v[0:1], v[0:1], v[8:9]
	v_mul_f64 v[8:9], v[102:103], s[54:55]
	v_add_f64 v[10:11], v[14:15], v[10:11]
	v_fma_f64 v[14:15], v[72:73], s[30:31], v[16:17]
	v_fma_f64 v[16:17], v[98:99], s[20:21], -v[182:183]
	v_add_f64 v[0:1], v[18:19], v[0:1]
	v_fma_f64 v[2:3], v[70:71], s[6:7], v[8:9]
	v_mul_f64 v[18:19], v[110:111], s[30:31]
	v_fma_f64 v[8:9], v[70:71], s[6:7], -v[8:9]
	v_add_f64 v[10:11], v[14:15], v[10:11]
	v_add_f64 v[2:3], v[2:3], v[52:53]
	v_fma_f64 v[24:25], v[74:75], s[34:35], v[18:19]
	v_add_f64 v[8:9], v[8:9], v[38:39]
	v_fma_f64 v[14:15], v[74:75], s[34:35], -v[18:19]
	v_mul_f64 v[18:19], v[102:103], s[50:51]
	v_add_f64 v[2:3], v[24:25], v[2:3]
	v_mul_f64 v[24:25], v[116:117], s[10:11]
	v_add_f64 v[8:9], v[14:15], v[8:9]
	v_fma_f64 v[26:27], v[80:81], s[8:9], v[24:25]
	v_fma_f64 v[14:15], v[80:81], s[48:49], v[24:25]
	v_mul_f64 v[24:25], v[112:113], s[20:21]
	v_add_f64 v[0:1], v[26:27], v[0:1]
	v_mul_f64 v[26:27], v[114:115], s[48:49]
	v_add_f64 v[10:11], v[14:15], v[10:11]
	v_fma_f64 v[52:53], v[82:83], s[10:11], v[26:27]
	v_fma_f64 v[14:15], v[82:83], s[10:11], -v[26:27]
	v_fma_f64 v[26:27], v[72:73], s[52:53], v[24:25]
	v_fma_f64 v[24:25], v[72:73], s[36:37], v[24:25]
	v_add_f64 v[2:3], v[52:53], v[2:3]
	v_mul_f64 v[52:53], v[120:121], s[26:27]
	v_add_f64 v[8:9], v[14:15], v[8:9]
	v_fma_f64 v[64:65], v[84:85], s[46:47], v[52:53]
	v_fma_f64 v[14:15], v[84:85], s[22:23], v[52:53]
	v_add_f64 v[0:1], v[64:65], v[0:1]
	v_mul_f64 v[64:65], v[168:169], s[22:23]
	v_add_f64 v[10:11], v[14:15], v[10:11]
	v_fma_f64 v[66:67], v[86:87], s[26:27], v[64:65]
	v_fma_f64 v[14:15], v[86:87], s[26:27], -v[64:65]
	v_add_f64 v[2:3], v[66:67], v[2:3]
	v_mul_f64 v[66:67], v[124:125], s[18:19]
	v_add_f64 v[8:9], v[14:15], v[8:9]
	v_fma_f64 v[172:173], v[88:89], s[16:17], v[66:67]
	v_fma_f64 v[14:15], v[88:89], s[50:51], v[66:67]
	v_add_f64 v[0:1], v[172:173], v[0:1]
	v_mul_f64 v[172:173], v[122:123], s[50:51]
	v_add_f64 v[10:11], v[14:15], v[10:11]
	v_fma_f64 v[174:175], v[90:91], s[18:19], v[172:173]
	v_fma_f64 v[14:15], v[90:91], s[18:19], -v[172:173]
	v_add_f64 v[2:3], v[174:175], v[2:3]
	v_mul_f64 v[174:175], v[126:127], s[28:29]
	v_add_f64 v[8:9], v[14:15], v[8:9]
	v_fma_f64 v[176:177], v[92:93], s[56:57], v[174:175]
	v_fma_f64 v[14:15], v[92:93], s[24:25], v[174:175]
	v_add_f64 v[0:1], v[176:177], v[0:1]
	v_mul_f64 v[176:177], v[100:101], s[24:25]
	v_add_f64 v[10:11], v[14:15], v[10:11]
	v_fma_f64 v[14:15], v[96:97], s[28:29], -v[176:177]
	v_fma_f64 v[178:179], v[96:97], s[28:29], v[176:177]
	v_add_f64 v[8:9], v[14:15], v[8:9]
	v_fma_f64 v[14:15], v[94:95], s[52:53], v[180:181]
	v_add_f64 v[178:179], v[178:179], v[2:3]
	v_fma_f64 v[2:3], v[94:95], s[36:37], v[180:181]
	v_mul_f64 v[180:181], v[108:109], s[28:29]
	v_add_f64 v[8:9], v[16:17], v[8:9]
	v_mul_f64 v[16:17], v[106:107], s[18:19]
	v_add_f64 v[10:11], v[14:15], v[10:11]
	v_add_f64 v[2:3], v[2:3], v[0:1]
	v_fma_f64 v[0:1], v[98:99], s[20:21], v[182:183]
	v_mul_f64 v[182:183], v[104:105], s[24:25]
	v_fma_f64 v[14:15], v[68:69], s[16:17], v[16:17]
	v_fma_f64 v[16:17], v[68:69], s[50:51], v[16:17]
	v_add_f64 v[0:1], v[0:1], v[178:179]
	v_add_f64 v[12:13], v[14:15], v[12:13]
	v_fma_f64 v[14:15], v[70:71], s[18:19], v[18:19]
	v_add_f64 v[16:17], v[16:17], v[156:157]
	v_fma_f64 v[18:19], v[70:71], s[18:19], -v[18:19]
	v_add_f64 v[12:13], v[26:27], v[12:13]
	v_mul_f64 v[26:27], v[110:111], s[36:37]
	v_add_f64 v[14:15], v[14:15], v[54:55]
	v_add_f64 v[18:19], v[18:19], v[40:41]
	;; [unrolled: 1-line block ×3, first 2 shown]
	v_mul_f64 v[40:41], v[102:103], s[56:57]
	v_fma_f64 v[38:39], v[74:75], s[20:21], v[26:27]
	v_fma_f64 v[24:25], v[74:75], s[20:21], -v[26:27]
	v_fma_f64 v[26:27], v[98:99], s[28:29], -v[182:183]
	v_add_f64 v[14:15], v[38:39], v[14:15]
	v_mul_f64 v[38:39], v[116:117], s[26:27]
	v_add_f64 v[18:19], v[24:25], v[18:19]
	v_fma_f64 v[52:53], v[80:81], s[22:23], v[38:39]
	v_fma_f64 v[24:25], v[80:81], s[46:47], v[38:39]
	v_mul_f64 v[38:39], v[106:107], s[28:29]
	v_add_f64 v[12:13], v[52:53], v[12:13]
	v_mul_f64 v[52:53], v[114:115], s[46:47]
	v_add_f64 v[16:17], v[24:25], v[16:17]
	v_fma_f64 v[54:55], v[82:83], s[26:27], v[52:53]
	v_fma_f64 v[24:25], v[82:83], s[26:27], -v[52:53]
	v_mul_f64 v[52:53], v[112:113], s[6:7]
	v_add_f64 v[14:15], v[54:55], v[14:15]
	v_mul_f64 v[54:55], v[120:121], s[6:7]
	v_add_f64 v[18:19], v[24:25], v[18:19]
	v_fma_f64 v[64:65], v[84:85], s[54:55], v[54:55]
	v_fma_f64 v[24:25], v[84:85], s[4:5], v[54:55]
	;; [unrolled: 1-line block ×3, first 2 shown]
	v_add_f64 v[12:13], v[64:65], v[12:13]
	v_mul_f64 v[64:65], v[168:169], s[4:5]
	v_add_f64 v[16:17], v[24:25], v[16:17]
	v_fma_f64 v[66:67], v[86:87], s[6:7], v[64:65]
	v_fma_f64 v[24:25], v[86:87], s[6:7], -v[64:65]
	v_add_f64 v[14:15], v[66:67], v[14:15]
	v_mul_f64 v[66:67], v[124:125], s[38:39]
	v_add_f64 v[18:19], v[24:25], v[18:19]
	v_fma_f64 v[172:173], v[88:89], s[42:43], v[66:67]
	v_fma_f64 v[24:25], v[88:89], s[40:41], v[66:67]
	v_add_f64 v[12:13], v[172:173], v[12:13]
	v_mul_f64 v[172:173], v[122:123], s[40:41]
	v_add_f64 v[16:17], v[24:25], v[16:17]
	v_fma_f64 v[174:175], v[90:91], s[38:39], v[172:173]
	v_fma_f64 v[24:25], v[90:91], s[38:39], -v[172:173]
	v_add_f64 v[14:15], v[174:175], v[14:15]
	v_mul_f64 v[174:175], v[126:127], s[10:11]
	v_add_f64 v[18:19], v[24:25], v[18:19]
	v_fma_f64 v[176:177], v[92:93], s[8:9], v[174:175]
	v_fma_f64 v[24:25], v[92:93], s[48:49], v[174:175]
	v_add_f64 v[12:13], v[176:177], v[12:13]
	v_mul_f64 v[176:177], v[100:101], s[48:49]
	v_add_f64 v[16:17], v[24:25], v[16:17]
	v_fma_f64 v[24:25], v[96:97], s[10:11], -v[176:177]
	v_fma_f64 v[178:179], v[96:97], s[10:11], v[176:177]
	v_add_f64 v[24:25], v[24:25], v[18:19]
	v_fma_f64 v[18:19], v[94:95], s[24:25], v[180:181]
	v_add_f64 v[178:179], v[178:179], v[14:15]
	v_fma_f64 v[14:15], v[94:95], s[56:57], v[180:181]
	v_mul_f64 v[180:181], v[108:109], s[18:19]
	v_add_f64 v[18:19], v[18:19], v[16:17]
	v_add_f64 v[16:17], v[26:27], v[24:25]
	v_fma_f64 v[24:25], v[68:69], s[24:25], v[38:39]
	v_fma_f64 v[26:27], v[70:71], s[28:29], v[40:41]
	;; [unrolled: 1-line block ×3, first 2 shown]
	v_fma_f64 v[40:41], v[70:71], s[28:29], -v[40:41]
	v_add_f64 v[14:15], v[14:15], v[12:13]
	v_fma_f64 v[12:13], v[98:99], s[28:29], v[182:183]
	v_mul_f64 v[182:183], v[104:105], s[50:51]
	v_add_f64 v[24:25], v[24:25], v[158:159]
	v_add_f64 v[26:27], v[26:27], v[56:57]
	;; [unrolled: 1-line block ×4, first 2 shown]
	v_fma_f64 v[42:43], v[72:73], s[4:5], v[52:53]
	v_mul_f64 v[52:53], v[70:71], s[10:11]
	v_add_f64 v[12:13], v[12:13], v[178:179]
	v_add_f64 v[24:25], v[54:55], v[24:25]
	v_mul_f64 v[54:55], v[110:111], s[4:5]
	v_add_f64 v[38:39], v[42:43], v[38:39]
	v_add_f64 v[52:53], v[52:53], -v[128:129]
	v_fma_f64 v[56:57], v[74:75], s[6:7], v[54:55]
	v_fma_f64 v[42:43], v[74:75], s[6:7], -v[54:55]
	v_mul_f64 v[54:55], v[112:113], s[18:19]
	v_add_f64 v[50:51], v[52:53], v[50:51]
	v_mul_f64 v[52:53], v[116:117], s[20:21]
	v_add_f64 v[26:27], v[56:57], v[26:27]
	;; [unrolled: 2-line block ×3, first 2 shown]
	v_add_f64 v[54:55], v[134:135], v[54:55]
	v_add_f64 v[52:53], v[138:139], v[52:53]
	v_fma_f64 v[64:65], v[80:81], s[44:45], v[56:57]
	v_fma_f64 v[42:43], v[80:81], s[30:31], v[56:57]
	v_add_f64 v[24:25], v[64:65], v[24:25]
	v_mul_f64 v[64:65], v[114:115], s[30:31]
	v_add_f64 v[38:39], v[42:43], v[38:39]
	v_fma_f64 v[66:67], v[82:83], s[34:35], v[64:65]
	v_fma_f64 v[42:43], v[82:83], s[34:35], -v[64:65]
	v_add_f64 v[26:27], v[66:67], v[26:27]
	v_mul_f64 v[66:67], v[120:121], s[20:21]
	v_add_f64 v[40:41], v[42:43], v[40:41]
	v_fma_f64 v[156:157], v[84:85], s[36:37], v[66:67]
	v_fma_f64 v[42:43], v[84:85], s[52:53], v[66:67]
	v_add_f64 v[24:25], v[156:157], v[24:25]
	v_mul_f64 v[156:157], v[168:169], s[52:53]
	v_add_f64 v[38:39], v[42:43], v[38:39]
	v_fma_f64 v[158:159], v[86:87], s[20:21], v[156:157]
	v_fma_f64 v[42:43], v[86:87], s[20:21], -v[156:157]
	v_add_f64 v[26:27], v[158:159], v[26:27]
	v_mul_f64 v[158:159], v[124:125], s[10:11]
	;; [unrolled: 10-line block ×3, first 2 shown]
	v_add_f64 v[40:41], v[42:43], v[40:41]
	v_fma_f64 v[176:177], v[92:93], s[42:43], v[174:175]
	v_fma_f64 v[42:43], v[92:93], s[40:41], v[174:175]
	v_add_f64 v[24:25], v[176:177], v[24:25]
	v_mul_f64 v[176:177], v[100:101], s[40:41]
	v_add_f64 v[38:39], v[42:43], v[38:39]
	v_fma_f64 v[42:43], v[96:97], s[38:39], -v[176:177]
	v_fma_f64 v[178:179], v[96:97], s[38:39], v[176:177]
	v_add_f64 v[40:41], v[42:43], v[40:41]
	v_mul_f64 v[42:43], v[106:107], s[10:11]
	v_add_f64 v[178:179], v[178:179], v[26:27]
	v_fma_f64 v[26:27], v[94:95], s[16:17], v[180:181]
	v_add_f64 v[42:43], v[130:131], v[42:43]
	v_add_f64 v[26:27], v[26:27], v[24:25]
	v_fma_f64 v[24:25], v[98:99], s[18:19], v[182:183]
	v_add_f64 v[36:37], v[42:43], v[36:37]
	v_mul_f64 v[42:43], v[74:75], s[18:19]
	v_add_f64 v[24:25], v[24:25], v[178:179]
	v_add_f64 v[36:37], v[54:55], v[36:37]
	v_add_f64 v[42:43], v[42:43], -v[132:133]
	v_mul_f64 v[54:55], v[82:83], s[20:21]
	v_add_f64 v[36:37], v[52:53], v[36:37]
	v_add_f64 v[42:43], v[42:43], v[50:51]
	v_add_f64 v[54:55], v[54:55], -v[136:137]
	v_mul_f64 v[50:51], v[120:121], s[28:29]
	v_mul_f64 v[52:53], v[86:87], s[28:29]
	v_add_f64 v[42:43], v[54:55], v[42:43]
	v_add_f64 v[50:51], v[142:143], v[50:51]
	v_mul_f64 v[54:55], v[124:125], s[26:27]
	v_add_f64 v[52:53], v[52:53], -v[140:141]
	v_add_f64 v[36:37], v[50:51], v[36:37]
	v_add_f64 v[54:55], v[146:147], v[54:55]
	v_mul_f64 v[50:51], v[90:91], s[26:27]
	v_add_f64 v[42:43], v[52:53], v[42:43]
	v_mul_f64 v[52:53], v[126:127], s[34:35]
	v_add_f64 v[36:37], v[54:55], v[36:37]
	v_add_f64 v[50:51], v[50:51], -v[144:145]
	v_mul_f64 v[54:55], v[96:97], s[34:35]
	v_add_f64 v[52:53], v[150:151], v[52:53]
	v_add_f64 v[42:43], v[50:51], v[42:43]
	v_add_f64 v[54:55], v[54:55], -v[148:149]
	v_add_f64 v[36:37], v[52:53], v[36:37]
	v_mul_f64 v[52:53], v[98:99], s[38:39]
	v_mul_f64 v[50:51], v[108:109], s[38:39]
	v_add_f64 v[42:43], v[54:55], v[42:43]
	v_mul_f64 v[54:55], v[106:107], s[20:21]
	v_add_f64 v[52:53], v[52:53], -v[152:153]
	v_add_f64 v[50:51], v[154:155], v[50:51]
	v_fma_f64 v[56:57], v[68:69], s[36:37], v[54:55]
	v_fma_f64 v[54:55], v[68:69], s[52:53], v[54:55]
	v_add_f64 v[32:33], v[56:57], v[32:33]
	v_mul_f64 v[56:57], v[102:103], s[36:37]
	v_add_f64 v[22:23], v[54:55], v[22:23]
	v_fma_f64 v[64:65], v[70:71], s[20:21], -v[56:57]
	v_fma_f64 v[56:57], v[70:71], s[20:21], v[56:57]
	v_add_f64 v[34:35], v[64:65], v[34:35]
	v_mul_f64 v[64:65], v[112:113], s[26:27]
	v_add_f64 v[20:21], v[56:57], v[20:21]
	v_fma_f64 v[66:67], v[72:73], s[22:23], v[64:65]
	v_add_f64 v[32:33], v[66:67], v[32:33]
	v_mul_f64 v[66:67], v[110:111], s[22:23]
	v_fma_f64 v[128:129], v[74:75], s[26:27], -v[66:67]
	v_fma_f64 v[54:55], v[74:75], s[26:27], v[66:67]
	v_mul_f64 v[66:67], v[100:101], s[4:5]
	v_add_f64 v[34:35], v[128:129], v[34:35]
	v_mul_f64 v[128:129], v[116:117], s[38:39]
	v_add_f64 v[20:21], v[54:55], v[20:21]
	v_fma_f64 v[130:131], v[80:81], s[40:41], v[128:129]
	v_add_f64 v[32:33], v[130:131], v[32:33]
	v_mul_f64 v[130:131], v[114:115], s[40:41]
	v_fma_f64 v[132:133], v[82:83], s[38:39], -v[130:131]
	v_add_f64 v[34:35], v[132:133], v[34:35]
	v_mul_f64 v[132:133], v[120:121], s[34:35]
	v_fma_f64 v[134:135], v[84:85], s[44:45], v[132:133]
	v_add_f64 v[32:33], v[134:135], v[32:33]
	v_mul_f64 v[134:135], v[168:169], s[44:45]
	v_fma_f64 v[136:137], v[86:87], s[34:35], -v[134:135]
	v_add_f64 v[34:35], v[136:137], v[34:35]
	v_mul_f64 v[136:137], v[124:125], s[28:29]
	;; [unrolled: 6-line block ×4, first 2 shown]
	v_fma_f64 v[146:147], v[68:69], s[22:23], v[34:35]
	v_fma_f64 v[34:35], v[68:69], s[46:47], v[34:35]
	v_add_f64 v[28:29], v[146:147], v[28:29]
	v_mul_f64 v[146:147], v[102:103], s[22:23]
	v_add_f64 v[30:31], v[34:35], v[30:31]
	v_fma_f64 v[148:149], v[70:71], s[26:27], -v[146:147]
	v_add_f64 v[48:49], v[148:149], v[48:49]
	v_mul_f64 v[148:149], v[112:113], s[38:39]
	v_fma_f64 v[150:151], v[72:73], s[42:43], v[148:149]
	v_fma_f64 v[34:35], v[72:73], s[40:41], v[148:149]
	v_add_f64 v[28:29], v[150:151], v[28:29]
	v_mul_f64 v[150:151], v[110:111], s[42:43]
	v_add_f64 v[30:31], v[34:35], v[30:31]
	v_fma_f64 v[152:153], v[74:75], s[38:39], -v[150:151]
	v_add_f64 v[48:49], v[152:153], v[48:49]
	v_mul_f64 v[152:153], v[116:117], s[28:29]
	v_fma_f64 v[154:155], v[80:81], s[56:57], v[152:153]
	v_fma_f64 v[34:35], v[80:81], s[24:25], v[152:153]
	v_add_f64 v[28:29], v[154:155], v[28:29]
	v_mul_f64 v[154:155], v[114:115], s[56:57]
	v_add_f64 v[30:31], v[34:35], v[30:31]
	v_fma_f64 v[156:157], v[82:83], s[28:29], -v[154:155]
	v_fma_f64 v[56:57], v[82:83], s[28:29], v[154:155]
	v_add_f64 v[48:49], v[156:157], v[48:49]
	v_mul_f64 v[156:157], v[120:121], s[10:11]
	v_fma_f64 v[158:159], v[84:85], s[48:49], v[156:157]
	v_fma_f64 v[34:35], v[84:85], s[8:9], v[156:157]
	v_add_f64 v[28:29], v[158:159], v[28:29]
	v_mul_f64 v[158:159], v[168:169], s[48:49]
	v_add_f64 v[30:31], v[34:35], v[30:31]
	v_fma_f64 v[34:35], v[70:71], s[26:27], v[146:147]
	v_fma_f64 v[160:161], v[86:87], s[10:11], -v[158:159]
	v_fma_f64 v[54:55], v[86:87], s[10:11], v[158:159]
	v_add_f64 v[34:35], v[34:35], v[62:63]
	v_fma_f64 v[62:63], v[74:75], s[38:39], v[150:151]
	v_add_f64 v[48:49], v[160:161], v[48:49]
	v_mul_f64 v[160:161], v[124:125], s[6:7]
	v_add_f64 v[34:35], v[62:63], v[34:35]
	v_fma_f64 v[62:63], v[72:73], s[46:47], v[64:65]
	v_fma_f64 v[172:173], v[88:89], s[4:5], v[160:161]
	;; [unrolled: 1-line block ×3, first 2 shown]
	v_add_f64 v[34:35], v[56:57], v[34:35]
	v_fma_f64 v[56:57], v[80:81], s[42:43], v[128:129]
	v_add_f64 v[22:23], v[62:63], v[22:23]
	v_fma_f64 v[62:63], v[82:83], s[38:39], v[130:131]
	v_add_f64 v[28:29], v[172:173], v[28:29]
	v_mul_f64 v[172:173], v[122:123], s[4:5]
	v_add_f64 v[34:35], v[54:55], v[34:35]
	v_fma_f64 v[54:55], v[84:85], s[30:31], v[132:133]
	v_add_f64 v[22:23], v[56:57], v[22:23]
	v_fma_f64 v[56:57], v[86:87], s[34:35], v[134:135]
	v_add_f64 v[20:21], v[62:63], v[20:21]
	v_add_f64 v[30:31], v[64:65], v[30:31]
	v_fma_f64 v[64:65], v[96:97], s[6:7], -v[66:67]
	v_fma_f64 v[66:67], v[96:97], s[6:7], v[66:67]
	v_fma_f64 v[174:175], v[90:91], s[6:7], -v[172:173]
	v_add_f64 v[22:23], v[54:55], v[22:23]
	v_mul_f64 v[54:55], v[108:109], s[34:35]
	v_add_f64 v[20:21], v[56:57], v[20:21]
	v_mul_f64 v[56:57], v[108:109], s[10:11]
	v_add_f64 v[48:49], v[174:175], v[48:49]
	v_mul_f64 v[174:175], v[126:127], s[20:21]
	v_fma_f64 v[176:177], v[92:93], s[36:37], v[174:175]
	v_add_f64 v[176:177], v[176:177], v[28:29]
	v_mul_f64 v[28:29], v[100:101], s[36:37]
	v_fma_f64 v[178:179], v[96:97], s[20:21], -v[28:29]
	v_fma_f64 v[28:29], v[96:97], s[20:21], v[28:29]
	v_add_f64 v[48:49], v[178:179], v[48:49]
	v_mul_f64 v[178:179], v[106:107], s[38:39]
	v_mul_f64 v[106:107], v[106:107], s[34:35]
	v_fma_f64 v[184:185], v[68:69], s[40:41], v[178:179]
	v_add_f64 v[166:167], v[184:185], v[166:167]
	v_mul_f64 v[184:185], v[112:113], s[28:29]
	v_mul_f64 v[112:113], v[112:113], s[10:11]
	;; [unrolled: 4-line block ×3, first 2 shown]
	v_fma_f64 v[188:189], v[70:71], s[38:39], -v[186:187]
	v_add_f64 v[46:47], v[188:189], v[46:47]
	v_mul_f64 v[188:189], v[116:117], s[6:7]
	v_mul_f64 v[116:117], v[116:117], s[18:19]
	v_fma_f64 v[190:191], v[80:81], s[54:55], v[188:189]
	v_add_f64 v[166:167], v[190:191], v[166:167]
	v_mul_f64 v[190:191], v[110:111], s[56:57]
	v_mul_f64 v[110:111], v[110:111], s[48:49]
	v_fma_f64 v[192:193], v[74:75], s[28:29], -v[190:191]
	v_add_f64 v[46:47], v[192:193], v[46:47]
	v_mul_f64 v[192:193], v[120:121], s[18:19]
	v_mul_f64 v[119:120], v[120:121], s[38:39]
	v_fma_f64 v[194:195], v[84:85], s[16:17], v[192:193]
	v_add_f64 v[166:167], v[194:195], v[166:167]
	v_mul_f64 v[194:195], v[114:115], s[54:55]
	v_mul_f64 v[114:115], v[114:115], s[16:17]
	;; [unrolled: 8-line block ×4, first 2 shown]
	v_fma_f64 v[204:205], v[90:91], s[34:35], -v[202:203]
	v_fma_f64 v[62:63], v[90:91], s[34:35], v[202:203]
	v_add_f64 v[46:47], v[204:205], v[46:47]
	v_mul_f64 v[204:205], v[100:101], s[46:47]
	v_fma_f64 v[206:207], v[96:97], s[26:27], -v[204:205]
	v_fma_f64 v[100:101], v[96:97], s[26:27], v[204:205]
	v_fma_f64 v[96:97], v[96:97], s[18:19], v[142:143]
	v_add_f64 v[46:47], v[206:207], v[46:47]
	v_fma_f64 v[206:207], v[68:69], s[44:45], v[106:107]
	v_fma_f64 v[106:107], v[68:69], s[30:31], v[106:107]
	v_add_f64 v[164:165], v[206:207], v[164:165]
	v_fma_f64 v[206:207], v[70:71], s[34:35], -v[102:103]
	v_add_f64 v[106:107], v[106:107], v[162:163]
	v_fma_f64 v[102:103], v[70:71], s[34:35], v[102:103]
	v_add_f64 v[44:45], v[206:207], v[44:45]
	v_fma_f64 v[206:207], v[72:73], s[48:49], v[112:113]
	v_fma_f64 v[112:113], v[72:73], s[8:9], v[112:113]
	v_add_f64 v[58:59], v[102:103], v[58:59]
	v_fma_f64 v[102:103], v[88:89], s[36:37], v[124:125]
	v_add_f64 v[164:165], v[206:207], v[164:165]
	v_add_f64 v[106:107], v[112:113], v[106:107]
	v_fma_f64 v[112:113], v[80:81], s[50:51], v[116:117]
	v_fma_f64 v[206:207], v[74:75], s[10:11], -v[110:111]
	v_add_f64 v[106:107], v[112:113], v[106:107]
	v_fma_f64 v[112:113], v[84:85], s[42:43], v[119:120]
	v_add_f64 v[44:45], v[206:207], v[44:45]
	v_fma_f64 v[206:207], v[80:81], s[16:17], v[116:117]
	;; [unrolled: 2-line block ×3, first 2 shown]
	v_add_f64 v[164:165], v[206:207], v[164:165]
	v_fma_f64 v[206:207], v[82:83], s[18:19], -v[114:115]
	v_add_f64 v[102:103], v[102:103], v[106:107]
	v_fma_f64 v[106:107], v[74:75], s[10:11], v[110:111]
	v_fma_f64 v[110:111], v[70:71], s[38:39], v[186:187]
	v_add_f64 v[44:45], v[206:207], v[44:45]
	v_fma_f64 v[206:207], v[84:85], s[40:41], v[119:120]
	v_fma_f64 v[70:71], v[88:89], s[24:25], v[136:137]
	v_add_f64 v[58:59], v[106:107], v[58:59]
	v_fma_f64 v[106:107], v[82:83], s[18:19], v[114:115]
	v_add_f64 v[60:61], v[110:111], v[60:61]
	;; [unrolled: 2-line block ×3, first 2 shown]
	v_fma_f64 v[206:207], v[86:87], s[38:39], -v[168:169]
	v_mul_f64 v[72:73], v[104:105], s[54:55]
	v_add_f64 v[22:23], v[70:71], v[22:23]
	v_fma_f64 v[114:115], v[94:95], s[44:45], v[54:55]
	v_add_f64 v[58:59], v[106:107], v[58:59]
	v_fma_f64 v[106:107], v[86:87], s[38:39], v[168:169]
	v_add_f64 v[44:45], v[206:207], v[44:45]
	v_fma_f64 v[206:207], v[88:89], s[52:53], v[124:125]
	v_fma_f64 v[70:71], v[98:99], s[6:7], -v[72:73]
	v_fma_f64 v[72:73], v[98:99], s[6:7], v[72:73]
	v_add_f64 v[58:59], v[106:107], v[58:59]
	v_fma_f64 v[106:107], v[90:91], s[20:21], v[121:122]
	v_add_f64 v[164:165], v[206:207], v[164:165]
	v_fma_f64 v[206:207], v[90:91], s[20:21], -v[121:122]
	v_add_f64 v[58:59], v[106:107], v[58:59]
	v_fma_f64 v[106:107], v[68:69], s[42:43], v[178:179]
	v_fma_f64 v[68:69], v[90:91], s[6:7], v[172:173]
	v_add_f64 v[44:45], v[206:207], v[44:45]
	v_fma_f64 v[206:207], v[92:93], s[4:5], v[126:127]
	v_add_f64 v[58:59], v[66:67], v[58:59]
	v_add_f64 v[106:107], v[106:107], v[170:171]
	;; [unrolled: 1-line block ×3, first 2 shown]
	v_mul_f64 v[68:69], v[104:105], s[48:49]
	v_add_f64 v[44:45], v[64:65], v[44:45]
	v_fma_f64 v[64:65], v[94:95], s[48:49], v[56:57]
	v_add_f64 v[164:165], v[206:207], v[164:165]
	v_fma_f64 v[56:57], v[94:95], s[8:9], v[56:57]
	;; [unrolled: 2-line block ×3, first 2 shown]
	v_fma_f64 v[74:75], v[90:91], s[28:29], v[138:139]
	v_fma_f64 v[90:91], v[94:95], s[50:51], v[180:181]
	v_add_f64 v[60:61], v[110:111], v[60:61]
	v_fma_f64 v[110:111], v[80:81], s[4:5], v[188:189]
	v_mul_f64 v[80:81], v[104:105], s[30:31]
	v_add_f64 v[20:21], v[74:75], v[20:21]
	v_add_f64 v[106:107], v[110:111], v[106:107]
	v_fma_f64 v[110:111], v[82:83], s[6:7], v[194:195]
	v_fma_f64 v[82:83], v[92:93], s[54:55], v[126:127]
	v_fma_f64 v[74:75], v[98:99], s[34:35], -v[80:81]
	v_fma_f64 v[80:81], v[98:99], s[34:35], v[80:81]
	v_add_f64 v[60:61], v[110:111], v[60:61]
	v_fma_f64 v[110:111], v[84:85], s[50:51], v[192:193]
	v_mul_f64 v[84:85], v[108:109], s[26:27]
	v_add_f64 v[82:83], v[82:83], v[102:103]
	v_fma_f64 v[102:103], v[98:99], s[10:11], -v[68:69]
	v_fma_f64 v[68:69], v[98:99], s[10:11], v[68:69]
	v_add_f64 v[106:107], v[110:111], v[106:107]
	v_fma_f64 v[110:111], v[86:87], s[18:19], v[198:199]
	v_fma_f64 v[86:87], v[92:93], s[22:23], v[200:201]
	;; [unrolled: 1-line block ×4, first 2 shown]
	v_add_f64 v[60:61], v[110:111], v[60:61]
	v_fma_f64 v[110:111], v[88:89], s[44:45], v[196:197]
	v_mul_f64 v[88:89], v[104:105], s[22:23]
	v_fma_f64 v[104:105], v[98:99], s[18:19], -v[182:183]
	v_add_f64 v[60:61], v[62:63], v[60:61]
	v_mul_f64 v[62:63], v[108:109], s[6:7]
	v_add_f64 v[106:107], v[110:111], v[106:107]
	v_fma_f64 v[108:109], v[92:93], s[52:53], v[174:175]
	v_fma_f64 v[92:93], v[92:93], s[16:17], v[140:141]
	v_add_f64 v[60:61], v[100:101], v[60:61]
	v_fma_f64 v[110:111], v[94:95], s[54:55], v[62:63]
	v_add_f64 v[86:87], v[86:87], v[106:107]
	v_fma_f64 v[106:107], v[98:99], s[26:27], -v[88:89]
	v_fma_f64 v[88:89], v[98:99], s[26:27], v[88:89]
	v_add_f64 v[100:101], v[108:109], v[30:31]
	v_add_f64 v[108:109], v[28:29], v[34:35]
	v_fma_f64 v[62:63], v[94:95], s[4:5], v[62:63]
	v_add_f64 v[92:93], v[92:93], v[22:23]
	v_add_f64 v[94:95], v[96:97], v[20:21]
	;; [unrolled: 1-line block ×12, first 2 shown]
	v_mul_lo_u16 v64, v208, 17
	v_mov_b32_e32 v65, 4
	v_add_f64 v[52:53], v[68:69], v[60:61]
	v_add_f64 v[34:35], v[110:111], v[32:33]
	;; [unrolled: 1-line block ×10, first 2 shown]
	v_lshlrev_b32_sdwa v64, v65, v64 dst_sel:DWORD dst_unused:UNUSED_PAD src0_sel:DWORD src1_sel:WORD_0
	ds_write_b128 v64, v[4:7]
	ds_write_b128 v64, v[28:31] offset:16
	ds_write_b128 v64, v[32:35] offset:32
	;; [unrolled: 1-line block ×16, first 2 shown]
.LBB0_7:
	s_or_b32 exec_lo, exec_lo, s33
	v_add_nc_u16 v2, v208, 0x77
	v_and_b32_e32 v1, 0xff, v208
	s_load_dwordx4 s[4:7], s[0:1], 0x0
	s_waitcnt lgkmcnt(0)
	s_barrier
	v_and_b32_e32 v3, 0xff, v2
	v_mul_lo_u16 v27, 0xf1, v1
	buffer_gl0_inv
	v_add_co_u32 v7, null, 0x165, v208
	v_mul_lo_u16 v9, 0xf1, v3
	v_lshrrev_b16 v16, 12, v27
	v_add_nc_u16 v4, v208, 0xee
	v_mov_b32_e32 v20, 0xf0f1
	v_add_co_u32 v12, null, 0x1dc, v208
	v_lshrrev_b16 v14, 12, v9
	v_mul_lo_u16 v1, v16, 17
	v_mul_u32_u24_sdwa v5, v4, v20 dst_sel:DWORD dst_unused:UNUSED_PAD src0_sel:WORD_0 src1_sel:DWORD
	v_mul_u32_u24_sdwa v28, v7, v20 dst_sel:DWORD dst_unused:UNUSED_PAD src0_sel:WORD_0 src1_sel:DWORD
	v_add_co_u32 v13, null, 0x253, v208
	v_mul_lo_u16 v6, v14, 17
	v_sub_nc_u16 v1, v208, v1
	v_lshrrev_b32_e32 v8, 20, v5
	v_add_co_u32 v10, null, 0x2ca, v208
	v_sub_nc_u16 v11, v2, v6
	v_and_b32_e32 v6, 0xff, v1
	v_mul_u32_u24_sdwa v29, v12, v20 dst_sel:DWORD dst_unused:UNUSED_PAD src0_sel:WORD_0 src1_sel:DWORD
	v_mul_u32_u24_sdwa v30, v13, v20 dst_sel:DWORD dst_unused:UNUSED_PAD src0_sel:WORD_0 src1_sel:DWORD
	v_mul_lo_u16 v15, v8, 17
	v_and_b32_e32 v1, 0xff, v11
	v_lshlrev_b32_e32 v17, 4, v6
	v_add_co_u32 v11, null, 0x341, v208
	v_mul_u32_u24_sdwa v31, v10, v20 dst_sel:DWORD dst_unused:UNUSED_PAD src0_sel:WORD_0 src1_sel:DWORD
	v_lshlrev_b32_e32 v18, 4, v1
	v_lshrrev_b32_e32 v19, 20, v30
	s_clause 0x1
	global_load_dwordx4 v[153:156], v17, s[2:3]
	global_load_dwordx4 v[149:152], v18, s[2:3]
	v_lshrrev_b32_e32 v17, 20, v28
	v_lshrrev_b32_e32 v18, 20, v29
	v_mul_u32_u24_sdwa v32, v11, v20 dst_sel:DWORD dst_unused:UNUSED_PAD src0_sel:WORD_0 src1_sel:DWORD
	v_mov_b32_e32 v0, 4
	v_sub_nc_u16 v15, v4, v15
	v_mul_lo_u16 v23, v17, 17
	v_lshrrev_b32_e32 v20, 20, v31
	v_mul_lo_u16 v25, v18, 17
	v_lshrrev_b32_e32 v21, 20, v32
	v_mul_lo_u16 v26, v19, 17
	v_sub_nc_u16 v24, v7, v23
	v_lshlrev_b32_sdwa v22, v0, v15 dst_sel:DWORD dst_unused:UNUSED_PAD src0_sel:DWORD src1_sel:WORD_0
	v_mul_lo_u16 v23, v20, 17
	v_sub_nc_u16 v25, v12, v25
	v_mul_lo_u16 v33, v21, 17
	v_lshlrev_b32_sdwa v34, v0, v24 dst_sel:DWORD dst_unused:UNUSED_PAD src0_sel:DWORD src1_sel:WORD_0
	v_sub_nc_u16 v26, v13, v26
	global_load_dwordx4 v[177:180], v22, s[2:3]
	v_lshlrev_b32_sdwa v35, v0, v25 dst_sel:DWORD dst_unused:UNUSED_PAD src0_sel:DWORD src1_sel:WORD_0
	v_lshlrev_b32_sdwa v116, v0, v208 dst_sel:DWORD dst_unused:UNUSED_PAD src0_sel:DWORD src1_sel:WORD_0
	global_load_dwordx4 v[173:176], v34, s[2:3]
	v_sub_nc_u16 v22, v10, v23
	v_sub_nc_u16 v23, v11, v33
	v_lshlrev_b32_sdwa v33, v0, v26 dst_sel:DWORD dst_unused:UNUSED_PAD src0_sel:DWORD src1_sel:WORD_0
	global_load_dwordx4 v[169:172], v35, s[2:3]
	v_lshrrev_b16 v75, 13, v27
	v_lshlrev_b32_sdwa v34, v0, v22 dst_sel:DWORD dst_unused:UNUSED_PAD src0_sel:DWORD src1_sel:WORD_0
	v_lshlrev_b32_sdwa v35, v0, v23 dst_sel:DWORD dst_unused:UNUSED_PAD src0_sel:DWORD src1_sel:WORD_0
	v_lshrrev_b32_e32 v129, 21, v28
	s_clause 0x2
	global_load_dwordx4 v[165:168], v33, s[2:3]
	global_load_dwordx4 v[161:164], v34, s[2:3]
	;; [unrolled: 1-line block ×3, first 2 shown]
	ds_read_b128 v[33:36], v116
	ds_read_b128 v[37:40], v116 offset:1904
	ds_read_b128 v[41:44], v116 offset:15232
	;; [unrolled: 1-line block ×15, first 2 shown]
	v_mul_lo_u16 v27, v75, 34
	v_mul_lo_u16 v28, v129, 34
	v_lshrrev_b32_e32 v117, 21, v5
	v_lshrrev_b32_e32 v130, 21, v29
	;; [unrolled: 1-line block ×3, first 2 shown]
	v_sub_nc_u16 v139, v208, v27
	v_sub_nc_u16 v142, v7, v28
	v_lshrrev_b32_e32 v132, 21, v31
	v_lshrrev_b16 v134, 13, v9
	v_mul_lo_u16 v9, v117, 34
	v_mul_lo_u16 v29, v130, 34
	;; [unrolled: 1-line block ×4, first 2 shown]
	v_lshrrev_b32_e32 v133, 21, v32
	v_sub_nc_u16 v141, v4, v9
	v_sub_nc_u16 v143, v12, v29
	;; [unrolled: 1-line block ×4, first 2 shown]
	v_mov_b32_e32 v73, 34
	v_mad_u16 v145, v8, 34, v15
	v_mad_u16 v146, v17, 34, v24
	;; [unrolled: 1-line block ×3, first 2 shown]
	v_mul_lo_u16 v16, v16, 34
	v_mul_u32_u24_sdwa v138, v14, v73 dst_sel:DWORD dst_unused:UNUSED_PAD src0_sel:WORD_0 src1_sel:DWORD
	v_mad_u16 v148, v19, 34, v26
	v_mul_lo_u16 v136, v133, 34
	v_mul_lo_u16 v140, v134, 34
	v_and_b32_e32 v137, 0xfe, v16
	v_cmp_gt_u16_e64 s0, 34, v208
	v_sub_nc_u16 v136, v11, v136
	s_waitcnt vmcnt(7) lgkmcnt(13)
	v_mul_f64 v[27:28], v[43:44], v[155:156]
	v_mul_f64 v[29:30], v[41:42], v[155:156]
	s_waitcnt vmcnt(6) lgkmcnt(12)
	v_mul_f64 v[31:32], v[47:48], v[151:152]
	v_mul_f64 v[73:74], v[45:46], v[151:152]
	;; [unrolled: 3-line block ×3, first 2 shown]
	v_fma_f64 v[9:10], v[41:42], v[153:154], -v[27:28]
	buffer_store_dword v153, off, s[60:63], 0 offset:60 ; 4-byte Folded Spill
	buffer_store_dword v154, off, s[60:63], 0 offset:64 ; 4-byte Folded Spill
	;; [unrolled: 1-line block ×4, first 2 shown]
	s_waitcnt vmcnt(4) lgkmcnt(8)
	v_mul_f64 v[106:107], v[63:64], v[175:176]
	v_fma_f64 v[14:15], v[45:46], v[149:150], -v[31:32]
	s_waitcnt vmcnt(3) lgkmcnt(5)
	v_mul_f64 v[110:111], v[82:83], v[171:172]
	buffer_store_dword v149, off, s[60:63], 0 offset:44 ; 4-byte Folded Spill
	buffer_store_dword v150, off, s[60:63], 0 offset:48 ; 4-byte Folded Spill
	;; [unrolled: 1-line block ×4, first 2 shown]
	v_mul_f64 v[108:109], v[61:62], v[175:176]
	v_mul_f64 v[112:113], v[80:81], v[171:172]
	s_waitcnt vmcnt(2) lgkmcnt(4)
	v_mul_f64 v[114:115], v[86:87], v[167:168]
	s_waitcnt vmcnt(1) lgkmcnt(1)
	;; [unrolled: 2-line block ×3, first 2 shown]
	v_mul_f64 v[125:126], v[102:103], v[159:160]
	v_mul_f64 v[119:120], v[84:85], v[167:168]
	;; [unrolled: 1-line block ×4, first 2 shown]
	v_mad_u16 v32, v20, 34, v22
	v_fma_f64 v[7:8], v[57:58], v[177:178], -v[12:13]
	buffer_store_dword v177, off, s[60:63], 0 offset:156 ; 4-byte Folded Spill
	buffer_store_dword v178, off, s[60:63], 0 offset:160 ; 4-byte Folded Spill
	;; [unrolled: 1-line block ×4, first 2 shown]
	v_add_f64 v[10:11], v[33:34], -v[9:10]
	v_fma_f64 v[24:25], v[61:62], v[173:174], -v[106:107]
	buffer_store_dword v173, off, s[60:63], 0 offset:140 ; 4-byte Folded Spill
	buffer_store_dword v174, off, s[60:63], 0 offset:144 ; 4-byte Folded Spill
	;; [unrolled: 1-line block ×4, first 2 shown]
	v_add_f64 v[14:15], v[37:38], -v[14:15]
	v_sub_nc_u16 v61, v2, v140
	v_fma_f64 v[41:42], v[84:85], v[165:166], -v[114:115]
	v_fma_f64 v[45:46], v[96:97], v[161:162], -v[121:122]
	;; [unrolled: 1-line block ×3, first 2 shown]
	v_add_lshl_u32 v85, v137, v6, 4
	v_lshlrev_b32_sdwa v84, v0, v145 dst_sel:DWORD dst_unused:UNUSED_PAD src0_sel:DWORD src1_sel:WORD_0
	v_add_f64 v[6:7], v[49:50], -v[7:8]
	v_fma_f64 v[12:13], v[43:44], v[153:154], v[29:30]
	v_fma_f64 v[28:29], v[80:81], v[169:170], -v[110:111]
	buffer_store_dword v169, off, s[60:63], 0 offset:124 ; 4-byte Folded Spill
	buffer_store_dword v170, off, s[60:63], 0 offset:128 ; 4-byte Folded Spill
	;; [unrolled: 1-line block ×16, first 2 shown]
	v_fma_f64 v[16:17], v[47:48], v[149:150], v[73:74]
	v_mad_u16 v73, v21, 34, v23
	v_lshlrev_b32_sdwa v80, v0, v32 dst_sel:DWORD dst_unused:UNUSED_PAD src0_sel:DWORD src1_sel:WORD_0
	v_lshlrev_b32_sdwa v81, v0, v148 dst_sel:DWORD dst_unused:UNUSED_PAD src0_sel:DWORD src1_sel:WORD_0
	s_waitcnt_vscnt null, 0x0
	s_barrier
	buffer_gl0_inv
	buffer_store_dword v85, off, s[60:63], 0 offset:360 ; 4-byte Folded Spill
	v_lshlrev_b32_sdwa v74, v0, v141 dst_sel:DWORD dst_unused:UNUSED_PAD src0_sel:DWORD src1_sel:WORD_0
	v_fma_f64 v[18:19], v[59:60], v[177:178], v[104:105]
	v_mov_b32_e32 v104, 0x44
	v_add_f64 v[12:13], v[35:36], -v[12:13]
	v_add_f64 v[22:23], v[65:66], -v[28:29]
	v_fma_f64 v[26:27], v[63:64], v[173:174], v[108:109]
	v_mul_u32_u24_sdwa v104, v134, v104 dst_sel:DWORD dst_unused:UNUSED_PAD src0_sel:WORD_0 src1_sel:DWORD
	v_add_f64 v[16:17], v[39:40], -v[16:17]
	v_add_f64 v[8:9], v[51:52], -v[18:19]
	;; [unrolled: 1-line block ×3, first 2 shown]
	ds_write_b128 v85, v[10:13] offset:272
	v_add_f64 v[20:21], v[55:56], -v[26:27]
	v_add_f64 v[26:27], v[69:70], -v[41:42]
	;; [unrolled: 1-line block ×4, first 2 shown]
	v_fma_f64 v[57:58], v[33:34], 2.0, -v[10:11]
	v_fma_f64 v[32:33], v[51:52], 2.0, -v[8:9]
	;; [unrolled: 1-line block ×3, first 2 shown]
	v_fma_f64 v[30:31], v[82:83], v[169:170], v[112:113]
	v_fma_f64 v[43:44], v[86:87], v[165:166], v[119:120]
	;; [unrolled: 1-line block ×4, first 2 shown]
	v_and_b32_e32 v103, 0xff, v61
	v_fma_f64 v[61:62], v[69:70], 2.0, -v[26:27]
	v_fma_f64 v[69:70], v[92:93], 2.0, -v[45:46]
	v_and_b32_e32 v102, 0xff, v139
	v_lshlrev_b32_sdwa v83, v0, v146 dst_sel:DWORD dst_unused:UNUSED_PAD src0_sel:DWORD src1_sel:WORD_0
	v_lshlrev_b32_sdwa v82, v0, v147 dst_sel:DWORD dst_unused:UNUSED_PAD src0_sel:DWORD src1_sel:WORD_0
                                        ; implicit-def: $vgpr156_vgpr157
                                        ; implicit-def: $vgpr160_vgpr161
                                        ; implicit-def: $vgpr164_vgpr165
                                        ; implicit-def: $vgpr168_vgpr169
	v_add_f64 v[24:25], v[67:68], -v[30:31]
	v_add_f64 v[28:29], v[71:72], -v[43:44]
	;; [unrolled: 1-line block ×4, first 2 shown]
	v_fma_f64 v[59:60], v[35:36], 2.0, -v[12:13]
	v_fma_f64 v[34:35], v[37:38], 2.0, -v[14:15]
	;; [unrolled: 1-line block ×7, first 2 shown]
	v_lshlrev_b32_sdwa v39, v0, v73 dst_sel:DWORD dst_unused:UNUSED_PAD src0_sel:DWORD src1_sel:WORD_0
	v_lshlrev_b32_e32 v38, 4, v102
	v_add_lshl_u32 v40, v138, v1, 4
	v_lshlrev_b32_e32 v1, 4, v103
	ds_write_b128 v85, v[57:60]
	ds_write_b128 v40, v[14:17] offset:272
	v_fma_f64 v[55:56], v[67:68], 2.0, -v[24:25]
	v_fma_f64 v[63:64], v[71:72], 2.0, -v[28:29]
	;; [unrolled: 1-line block ×4, first 2 shown]
	buffer_store_dword v40, off, s[60:63], 0 offset:364 ; 4-byte Folded Spill
	ds_write_b128 v40, v[34:37]
	ds_write_b128 v84, v[30:33]
	buffer_store_dword v84, off, s[60:63], 0 offset:356 ; 4-byte Folded Spill
	ds_write_b128 v84, v[6:9] offset:272
	ds_write_b128 v83, v[49:52]
	buffer_store_dword v83, off, s[60:63], 0 offset:352 ; 4-byte Folded Spill
	v_lshlrev_b32_sdwa v6, v0, v142 dst_sel:DWORD dst_unused:UNUSED_PAD src0_sel:DWORD src1_sel:WORD_0
	v_lshlrev_b32_sdwa v7, v0, v144 dst_sel:DWORD dst_unused:UNUSED_PAD src0_sel:DWORD src1_sel:WORD_0
	ds_write_b128 v83, v[18:21] offset:272
	ds_write_b128 v82, v[53:56]
	buffer_store_dword v82, off, s[60:63], 0 offset:348 ; 4-byte Folded Spill
	ds_write_b128 v82, v[22:25] offset:272
	ds_write_b128 v81, v[61:64]
	buffer_store_dword v81, off, s[60:63], 0 offset:344 ; 4-byte Folded Spill
	;; [unrolled: 3-line block ×4, first 2 shown]
	ds_write_b128 v39, v[45:48] offset:272
	s_waitcnt lgkmcnt(0)
	s_waitcnt_vscnt null, 0x0
	s_barrier
	buffer_gl0_inv
	s_clause 0x2
	global_load_dwordx4 v[149:152], v38, s[2:3] offset:272
	global_load_dwordx4 v[145:148], v1, s[2:3] offset:272
	;; [unrolled: 1-line block ×3, first 2 shown]
	v_lshlrev_b32_sdwa v1, v0, v143 dst_sel:DWORD dst_unused:UNUSED_PAD src0_sel:DWORD src1_sel:WORD_0
	v_lshlrev_b32_sdwa v6, v0, v135 dst_sel:DWORD dst_unused:UNUSED_PAD src0_sel:DWORD src1_sel:WORD_0
	s_clause 0x1
	global_load_dwordx4 v[109:112], v74, s[2:3] offset:272
	global_load_dwordx4 v[123:126], v1, s[2:3] offset:272
	v_lshlrev_b32_sdwa v1, v0, v136 dst_sel:DWORD dst_unused:UNUSED_PAD src0_sel:DWORD src1_sel:WORD_0
	s_clause 0x2
	global_load_dwordx4 v[137:140], v7, s[2:3] offset:272
	global_load_dwordx4 v[98:101], v6, s[2:3] offset:272
	;; [unrolled: 1-line block ×3, first 2 shown]
	ds_read_b128 v[6:9], v116 offset:15232
	ds_read_b128 v[10:13], v116 offset:17136
	;; [unrolled: 1-line block ×7, first 2 shown]
	v_mul_lo_u16 v1, 0x44, v75
	ds_read_b128 v[34:37], v116 offset:28560
	ds_read_b128 v[38:41], v116
	ds_read_b128 v[64:67], v116 offset:1904
	ds_read_b128 v[68:71], v116 offset:3808
	;; [unrolled: 1-line block ×5, first 2 shown]
	v_and_b32_e32 v1, 0xfc, v1
	s_waitcnt vmcnt(7) lgkmcnt(13)
	v_mul_f64 v[42:43], v[8:9], v[151:152]
	v_mul_f64 v[44:45], v[6:7], v[151:152]
	s_waitcnt vmcnt(6) lgkmcnt(12)
	v_mul_f64 v[46:47], v[12:13], v[147:148]
	s_waitcnt vmcnt(5) lgkmcnt(10)
	v_mul_f64 v[54:55], v[20:21], v[121:122]
	v_mul_f64 v[48:49], v[10:11], v[147:148]
	s_waitcnt vmcnt(4)
	v_mul_f64 v[50:51], v[16:17], v[111:112]
	v_mul_f64 v[52:53], v[14:15], v[111:112]
	;; [unrolled: 1-line block ×3, first 2 shown]
	s_waitcnt vmcnt(3) lgkmcnt(9)
	v_mul_f64 v[58:59], v[24:25], v[125:126]
	v_mul_f64 v[60:61], v[22:23], v[125:126]
	s_waitcnt vmcnt(2) lgkmcnt(8)
	v_mul_f64 v[62:63], v[28:29], v[139:140]
	s_waitcnt vmcnt(1) lgkmcnt(7)
	;; [unrolled: 2-line block ×3, first 2 shown]
	v_mul_f64 v[94:95], v[36:37], v[107:108]
	v_mul_f64 v[80:81], v[26:27], v[139:140]
	;; [unrolled: 1-line block ×4, first 2 shown]
	v_fma_f64 v[42:43], v[6:7], v[149:150], -v[42:43]
	buffer_store_dword v149, off, s[60:63], 0 offset:284 ; 4-byte Folded Spill
	buffer_store_dword v150, off, s[60:63], 0 offset:288 ; 4-byte Folded Spill
	;; [unrolled: 1-line block ×4, first 2 shown]
	v_fma_f64 v[46:47], v[10:11], v[145:146], -v[46:47]
	buffer_store_dword v145, off, s[60:63], 0 offset:268 ; 4-byte Folded Spill
	buffer_store_dword v146, off, s[60:63], 0 offset:272 ; 4-byte Folded Spill
	;; [unrolled: 1-line block ×4, first 2 shown]
	v_fma_f64 v[54:55], v[18:19], v[119:120], -v[54:55]
	v_fma_f64 v[50:51], v[14:15], v[109:110], -v[50:51]
	buffer_store_dword v109, off, s[60:63], 0 offset:204 ; 4-byte Folded Spill
	buffer_store_dword v110, off, s[60:63], 0 offset:208 ; 4-byte Folded Spill
	;; [unrolled: 1-line block ×8, first 2 shown]
	v_fma_f64 v[58:59], v[22:23], v[123:124], -v[58:59]
	buffer_store_dword v123, off, s[60:63], 0 offset:236 ; 4-byte Folded Spill
	buffer_store_dword v124, off, s[60:63], 0 offset:240 ; 4-byte Folded Spill
	buffer_store_dword v125, off, s[60:63], 0 offset:244 ; 4-byte Folded Spill
	buffer_store_dword v126, off, s[60:63], 0 offset:248 ; 4-byte Folded Spill
	v_fma_f64 v[62:63], v[26:27], v[137:138], -v[62:63]
	buffer_store_dword v137, off, s[60:63], 0 offset:252 ; 4-byte Folded Spill
	buffer_store_dword v138, off, s[60:63], 0 offset:256 ; 4-byte Folded Spill
	buffer_store_dword v139, off, s[60:63], 0 offset:260 ; 4-byte Folded Spill
	buffer_store_dword v140, off, s[60:63], 0 offset:264 ; 4-byte Folded Spill
	;; [unrolled: 5-line block ×3, first 2 shown]
	v_fma_f64 v[100:101], v[34:35], v[105:106], -v[94:95]
	s_waitcnt lgkmcnt(5)
	v_add_f64 v[14:15], v[38:39], -v[42:43]
	v_mad_u16 v42, 0x44, v132, v135
	s_waitcnt lgkmcnt(4)
	v_add_f64 v[18:19], v[64:65], -v[46:47]
	v_mad_u16 v43, 0x44, v133, v136
	s_waitcnt lgkmcnt(2)
	v_add_f64 v[26:27], v[72:73], -v[54:55]
	v_add_f64 v[22:23], v[68:69], -v[50:51]
	v_add_lshl_u32 v47, v1, v102, 4
	v_lshlrev_b32_sdwa v1, v0, v42 dst_sel:DWORD dst_unused:UNUSED_PAD src0_sel:DWORD src1_sel:WORD_0
	s_waitcnt lgkmcnt(1)
	v_add_f64 v[30:31], v[84:85], -v[58:59]
	s_waitcnt lgkmcnt(0)
	v_add_f64 v[34:35], v[88:89], -v[62:63]
	v_fma_f64 v[38:39], v[38:39], 2.0, -v[14:15]
	v_fma_f64 v[64:65], v[64:65], 2.0, -v[18:19]
	;; [unrolled: 1-line block ×6, first 2 shown]
	v_fma_f64 v[44:45], v[8:9], v[149:150], v[44:45]
	ds_read_b128 v[6:9], v116 offset:11424
	buffer_store_dword v105, off, s[60:63], 0 offset:172 ; 4-byte Folded Spill
	buffer_store_dword v106, off, s[60:63], 0 offset:176 ; 4-byte Folded Spill
	;; [unrolled: 1-line block ×4, first 2 shown]
	v_fma_f64 v[48:49], v[12:13], v[145:146], v[48:49]
	ds_read_b128 v[10:13], v116 offset:13328
	v_fma_f64 v[52:53], v[16:17], v[109:110], v[52:53]
	v_fma_f64 v[56:57], v[20:21], v[119:120], v[56:57]
	v_mad_u16 v107, 0x44, v130, v143
	v_fma_f64 v[60:61], v[24:25], v[123:124], v[60:61]
	v_mad_u16 v108, 0x44, v131, v144
	v_fma_f64 v[80:81], v[28:29], v[137:138], v[80:81]
	s_waitcnt lgkmcnt(0)
	s_waitcnt_vscnt null, 0x0
	v_fma_f64 v[98:99], v[32:33], v[98:99], v[92:93]
	s_barrier
	buffer_gl0_inv
	buffer_store_dword v47, off, s[60:63], 0 offset:328 ; 4-byte Folded Spill
	v_add_f64 v[92:93], v[6:7], -v[82:83]
	v_add_f64 v[16:17], v[40:41], -v[44:45]
	v_lshlrev_b32_sdwa v44, v0, v107 dst_sel:DWORD dst_unused:UNUSED_PAD src0_sel:DWORD src1_sel:WORD_0
	v_add_f64 v[20:21], v[66:67], -v[48:49]
	v_add_f64 v[24:25], v[70:71], -v[52:53]
	;; [unrolled: 1-line block ×5, first 2 shown]
	v_fma_f64 v[6:7], v[6:7], 2.0, -v[92:93]
	v_fma_f64 v[40:41], v[40:41], 2.0, -v[16:17]
	ds_write_b128 v47, v[14:17] offset:544
	v_fma_f64 v[66:67], v[66:67], 2.0, -v[20:21]
	v_fma_f64 v[70:71], v[70:71], 2.0, -v[24:25]
	;; [unrolled: 1-line block ×5, first 2 shown]
	v_fma_f64 v[96:97], v[36:37], v[105:106], v[96:97]
	v_add_f64 v[36:37], v[90:91], -v[80:81]
	v_add_f64 v[80:81], v[10:11], -v[100:101]
	v_mad_u16 v105, 0x44, v117, v141
	v_mad_u16 v106, 0x44, v129, v142
	v_lshlrev_b32_sdwa v46, v0, v105 dst_sel:DWORD dst_unused:UNUSED_PAD src0_sel:DWORD src1_sel:WORD_0
	v_lshlrev_b32_sdwa v45, v0, v106 dst_sel:DWORD dst_unused:UNUSED_PAD src0_sel:DWORD src1_sel:WORD_0
	v_add_f64 v[82:83], v[12:13], -v[96:97]
	v_fma_f64 v[90:91], v[90:91], 2.0, -v[36:37]
	v_fma_f64 v[124:125], v[10:11], 2.0, -v[80:81]
	v_lshlrev_b32_sdwa v10, v0, v108 dst_sel:DWORD dst_unused:UNUSED_PAD src0_sel:DWORD src1_sel:WORD_0
	v_lshlrev_b32_sdwa v0, v0, v43 dst_sel:DWORD dst_unused:UNUSED_PAD src0_sel:DWORD src1_sel:WORD_0
	v_add_lshl_u32 v11, v104, v103, 4
	ds_write_b128 v47, v[38:41]
	ds_write_b128 v11, v[64:67]
	buffer_store_dword v11, off, s[60:63], 0 offset:332 ; 4-byte Folded Spill
	ds_write_b128 v11, v[18:21] offset:544
	ds_write_b128 v46, v[68:71]
	buffer_store_dword v46, off, s[60:63], 0 offset:320 ; 4-byte Folded Spill
	ds_write_b128 v46, v[22:25] offset:544
	;; [unrolled: 3-line block ×4, first 2 shown]
	ds_write_b128 v10, v[88:91]
	v_fma_f64 v[126:127], v[12:13], 2.0, -v[82:83]
	buffer_store_dword v10, off, s[60:63], 0 offset:312 ; 4-byte Folded Spill
	ds_write_b128 v10, v[34:37] offset:544
	ds_write_b128 v1, v[6:9]
	buffer_store_dword v1, off, s[60:63], 0 offset:304 ; 4-byte Folded Spill
	ds_write_b128 v1, v[92:95] offset:544
	ds_write_b128 v0, v[124:127]
	buffer_store_dword v0, off, s[60:63], 0 offset:300 ; 4-byte Folded Spill
	ds_write_b128 v0, v[80:83] offset:544
	s_waitcnt lgkmcnt(0)
	s_waitcnt_vscnt null, 0x0
	s_barrier
	buffer_gl0_inv
	ds_read_b128 v[140:143], v116
	ds_read_b128 v[132:135], v116 offset:1904
	ds_read_b128 v[112:115], v116 offset:4352
	;; [unrolled: 1-line block ×13, first 2 shown]
	s_and_saveexec_b32 s1, s0
	s_cbranch_execz .LBB0_9
; %bb.8:
	ds_read_b128 v[124:127], v116 offset:3808
	ds_read_b128 v[80:83], v116 offset:8160
	;; [unrolled: 1-line block ×7, first 2 shown]
.LBB0_9:
	s_or_b32 exec_lo, exec_lo, s1
	v_add_nc_u32_e32 v0, 0xffffffbc, v208
	v_cmp_gt_u16_e64 s1, 0x44, v208
	v_lshrrev_b32_e32 v5, 22, v5
	s_mov_b32 s20, 0xaaaaaaaa
	s_mov_b32 s21, 0xbff2aaaa
	;; [unrolled: 1-line block ×3, first 2 shown]
	v_cndmask_b32_e64 v6, v0, v208, s1
	v_mul_lo_u16 v5, 0x44, v5
	s_mov_b32 s25, 0xbfe11646
	s_mov_b32 s18, 0x429ad128
	s_mov_b32 s26, 0x37e14327
	v_mul_i32_i24_e32 v0, 0x60, v6
	v_mul_hi_i32_i24_e32 v1, 0x60, v6
	v_sub_nc_u16 v13, v4, v5
	s_mov_b32 s19, 0x3febfeb5
	s_mov_b32 s27, 0x3fe948f6
	v_add_co_u32 v0, s1, s2, v0
	v_add_co_ci_u32_e64 v1, s1, s3, v1, s1
	s_mov_b32 s8, 0x36b3c0b5
	s_mov_b32 s22, 0x5476071b
	s_clause 0x5
	global_load_dwordx4 v[17:20], v[0:1], off offset:816
	global_load_dwordx4 v[21:24], v[0:1], off offset:832
	;; [unrolled: 1-line block ×6, first 2 shown]
	s_mov_b32 s16, 0xb247c609
	s_mov_b32 s9, 0x3fac98ee
	;; [unrolled: 1-line block ×10, first 2 shown]
	s_waitcnt vmcnt(5) lgkmcnt(11)
	v_mul_f64 v[0:1], v[114:115], v[19:20]
	v_mul_f64 v[7:8], v[112:113], v[19:20]
	s_waitcnt vmcnt(4) lgkmcnt(9)
	v_mul_f64 v[9:10], v[110:111], v[23:24]
	s_waitcnt vmcnt(3) lgkmcnt(7)
	v_mul_f64 v[4:5], v[90:91], v[27:28]
	v_mul_f64 v[11:12], v[108:109], v[23:24]
	v_fma_f64 v[15:16], v[112:113], v[17:18], -v[0:1]
	buffer_store_dword v17, off, s[60:63], 0 offset:368 ; 4-byte Folded Spill
	buffer_store_dword v18, off, s[60:63], 0 offset:372 ; 4-byte Folded Spill
	;; [unrolled: 1-line block ×4, first 2 shown]
	v_fma_f64 v[19:20], v[108:109], v[21:22], -v[9:10]
	buffer_store_dword v21, off, s[60:63], 0 offset:480 ; 4-byte Folded Spill
	buffer_store_dword v22, off, s[60:63], 0 offset:484 ; 4-byte Folded Spill
	;; [unrolled: 1-line block ×4, first 2 shown]
	v_mul_f64 v[0:1], v[88:89], v[27:28]
	buffer_store_dword v13, off, s[60:63], 0 offset:324 ; 4-byte Folded Spill
	v_fma_f64 v[23:24], v[88:89], v[25:26], -v[4:5]
	buffer_store_dword v25, off, s[60:63], 0 offset:384 ; 4-byte Folded Spill
	buffer_store_dword v26, off, s[60:63], 0 offset:388 ; 4-byte Folded Spill
	;; [unrolled: 1-line block ×4, first 2 shown]
	s_waitcnt vmcnt(2) lgkmcnt(5)
	v_mul_f64 v[9:10], v[68:69], v[31:32]
	s_waitcnt vmcnt(1) lgkmcnt(3)
	v_mul_f64 v[4:5], v[84:85], v[121:122]
	v_fma_f64 v[33:34], v[86:87], v[119:120], v[4:5]
	s_waitcnt vmcnt(0) lgkmcnt(1)
	v_mul_f64 v[4:5], v[72:73], v[39:40]
	v_fma_f64 v[17:18], v[114:115], v[17:18], v[7:8]
	v_mul_f64 v[7:8], v[70:71], v[31:32]
	v_fma_f64 v[21:22], v[110:111], v[21:22], v[11:12]
	v_mul_lo_u16 v11, 0x60, v13
	v_fma_f64 v[25:26], v[90:91], v[25:26], v[0:1]
	v_mul_f64 v[0:1], v[86:87], v[121:122]
	v_and_b32_e32 v11, 0xffff, v11
	v_add_co_u32 v11, s1, s2, v11
	v_add_co_ci_u32_e64 v12, null, s3, 0, s1
	v_cmp_lt_u16_e64 s1, 0x43, v208
	v_cndmask_b32_e64 v63, 0, 0x1dc, s1
	v_fma_f64 v[27:28], v[68:69], v[29:30], -v[7:8]
	buffer_store_dword v29, off, s[60:63], 0 offset:400 ; 4-byte Folded Spill
	buffer_store_dword v30, off, s[60:63], 0 offset:404 ; 4-byte Folded Spill
	;; [unrolled: 1-line block ×4, first 2 shown]
	v_add_lshl_u32 v117, v6, v63, 4
	v_fma_f64 v[31:32], v[84:85], v[119:120], -v[0:1]
	v_mul_f64 v[0:1], v[74:75], v[39:40]
	v_add_f64 v[96:97], v[23:24], v[27:28]
	v_add_f64 v[94:95], v[19:20], v[31:32]
	v_fma_f64 v[35:36], v[72:73], v[37:38], -v[0:1]
	v_add_f64 v[92:93], v[15:16], v[35:36]
	v_fma_f64 v[29:30], v[70:71], v[29:30], v[9:10]
	global_load_dwordx4 v[7:10], v[11:12], off offset:816
	buffer_store_dword v37, off, s[60:63], 0 offset:512 ; 4-byte Folded Spill
	buffer_store_dword v38, off, s[60:63], 0 offset:516 ; 4-byte Folded Spill
	;; [unrolled: 1-line block ×4, first 2 shown]
	global_load_dwordx4 v[45:48], v[11:12], off offset:832
	v_fma_f64 v[37:38], v[74:75], v[37:38], v[4:5]
	s_waitcnt vmcnt(1)
	v_mul_f64 v[0:1], v[82:83], v[9:10]
	v_fma_f64 v[39:40], v[80:81], v[7:8], -v[0:1]
	v_mul_f64 v[0:1], v[80:81], v[9:10]
	buffer_store_dword v7, off, s[60:63], 0 offset:536 ; 4-byte Folded Spill
	buffer_store_dword v8, off, s[60:63], 0 offset:540 ; 4-byte Folded Spill
	;; [unrolled: 1-line block ×4, first 2 shown]
	v_fma_f64 v[41:42], v[82:83], v[7:8], v[0:1]
	s_waitcnt vmcnt(0)
	v_mul_f64 v[0:1], v[78:79], v[47:48]
	v_fma_f64 v[43:44], v[76:77], v[45:46], -v[0:1]
	v_mul_f64 v[0:1], v[76:77], v[47:48]
	buffer_store_dword v45, off, s[60:63], 0 offset:552 ; 4-byte Folded Spill
	buffer_store_dword v46, off, s[60:63], 0 offset:556 ; 4-byte Folded Spill
	;; [unrolled: 1-line block ×4, first 2 shown]
	s_clause 0x1
	global_load_dwordx4 v[7:10], v[11:12], off offset:848
	global_load_dwordx4 v[53:56], v[11:12], off offset:864
	v_fma_f64 v[45:46], v[78:79], v[45:46], v[0:1]
	s_waitcnt vmcnt(1)
	v_mul_f64 v[0:1], v[158:159], v[9:10]
	v_fma_f64 v[47:48], v[156:157], v[7:8], -v[0:1]
	v_mul_f64 v[0:1], v[156:157], v[9:10]
	buffer_store_dword v7, off, s[60:63], 0 offset:568 ; 4-byte Folded Spill
	buffer_store_dword v8, off, s[60:63], 0 offset:572 ; 4-byte Folded Spill
	;; [unrolled: 1-line block ×4, first 2 shown]
	v_fma_f64 v[49:50], v[158:159], v[7:8], v[0:1]
	s_waitcnt vmcnt(0)
	v_mul_f64 v[0:1], v[162:163], v[55:56]
	v_fma_f64 v[51:52], v[160:161], v[53:54], -v[0:1]
	v_mul_f64 v[0:1], v[160:161], v[55:56]
	buffer_store_dword v53, off, s[60:63], 0 offset:584 ; 4-byte Folded Spill
	buffer_store_dword v54, off, s[60:63], 0 offset:588 ; 4-byte Folded Spill
	;; [unrolled: 1-line block ×4, first 2 shown]
	s_clause 0x1
	global_load_dwordx4 v[7:10], v[11:12], off offset:880
	global_load_dwordx4 v[11:14], v[11:12], off offset:896
	v_fma_f64 v[53:54], v[162:163], v[53:54], v[0:1]
	s_waitcnt vmcnt(1)
	v_mul_f64 v[0:1], v[166:167], v[9:10]
	v_add_f64 v[156:157], v[49:50], v[53:54]
	v_fma_f64 v[55:56], v[164:165], v[7:8], -v[0:1]
	v_mul_f64 v[0:1], v[164:165], v[9:10]
	buffer_store_dword v7, off, s[60:63], 0 offset:600 ; 4-byte Folded Spill
	buffer_store_dword v8, off, s[60:63], 0 offset:604 ; 4-byte Folded Spill
	;; [unrolled: 1-line block ×4, first 2 shown]
	v_fma_f64 v[57:58], v[166:167], v[7:8], v[0:1]
	s_waitcnt vmcnt(0) lgkmcnt(0)
	v_mul_f64 v[0:1], v[170:171], v[13:14]
	v_fma_f64 v[59:60], v[168:169], v[11:12], -v[0:1]
	v_mul_f64 v[0:1], v[168:169], v[13:14]
	buffer_store_dword v11, off, s[60:63], 0 offset:616 ; 4-byte Folded Spill
	buffer_store_dword v12, off, s[60:63], 0 offset:620 ; 4-byte Folded Spill
	;; [unrolled: 1-line block ×4, first 2 shown]
	v_fma_f64 v[61:62], v[170:171], v[11:12], v[0:1]
	v_mul_lo_u16 v0, 0x79, v3
	v_lshrrev_b16 v4, 13, v0
	v_mul_lo_u16 v0, 0x44, v4
	v_sub_nc_u16 v0, v2, v0
	v_and_b32_e32 v5, 0xff, v0
	v_mad_u64_u32 v[0:1], null, 0x60, v5, s[2:3]
	s_clause 0x1
	global_load_dwordx4 v[7:10], v[0:1], off offset:816
	global_load_dwordx4 v[11:14], v[0:1], off offset:832
	s_waitcnt vmcnt(1)
	v_mul_f64 v[2:3], v[106:107], v[9:10]
	v_fma_f64 v[68:69], v[104:105], v[7:8], -v[2:3]
	v_mul_f64 v[2:3], v[104:105], v[9:10]
	buffer_store_dword v7, off, s[60:63], 0 offset:448 ; 4-byte Folded Spill
	buffer_store_dword v8, off, s[60:63], 0 offset:452 ; 4-byte Folded Spill
	;; [unrolled: 1-line block ×4, first 2 shown]
	v_add_f64 v[104:105], v[25:26], v[29:30]
	v_fma_f64 v[70:71], v[106:107], v[7:8], v[2:3]
	s_waitcnt vmcnt(0)
	v_mul_f64 v[2:3], v[102:103], v[13:14]
	v_fma_f64 v[72:73], v[100:101], v[11:12], -v[2:3]
	v_mul_f64 v[2:3], v[100:101], v[13:14]
	buffer_store_dword v11, off, s[60:63], 0 offset:464 ; 4-byte Folded Spill
	buffer_store_dword v12, off, s[60:63], 0 offset:468 ; 4-byte Folded Spill
	;; [unrolled: 1-line block ×4, first 2 shown]
	v_add_f64 v[100:101], v[17:18], v[37:38]
	v_fma_f64 v[74:75], v[102:103], v[11:12], v[2:3]
	s_clause 0x1
	global_load_dwordx4 v[7:10], v[0:1], off offset:848
	global_load_dwordx4 v[11:14], v[0:1], off offset:864
	v_add_f64 v[102:103], v[21:22], v[33:34]
	s_waitcnt vmcnt(1)
	v_mul_f64 v[2:3], v[146:147], v[9:10]
	v_fma_f64 v[76:77], v[144:145], v[7:8], -v[2:3]
	v_mul_f64 v[2:3], v[144:145], v[9:10]
	buffer_store_dword v7, off, s[60:63], 0 offset:416 ; 4-byte Folded Spill
	buffer_store_dword v8, off, s[60:63], 0 offset:420 ; 4-byte Folded Spill
	;; [unrolled: 1-line block ×4, first 2 shown]
	v_fma_f64 v[78:79], v[146:147], v[7:8], v[2:3]
	s_waitcnt vmcnt(0)
	v_mul_f64 v[2:3], v[130:131], v[13:14]
	v_fma_f64 v[80:81], v[128:129], v[11:12], -v[2:3]
	v_mul_f64 v[2:3], v[128:129], v[13:14]
	buffer_store_dword v11, off, s[60:63], 0 offset:432 ; 4-byte Folded Spill
	buffer_store_dword v12, off, s[60:63], 0 offset:436 ; 4-byte Folded Spill
	buffer_store_dword v13, off, s[60:63], 0 offset:440 ; 4-byte Folded Spill
	buffer_store_dword v14, off, s[60:63], 0 offset:444 ; 4-byte Folded Spill
	s_clause 0x1
	global_load_dwordx4 v[7:10], v[0:1], off offset:880
	global_load_dwordx4 v[144:147], v[0:1], off offset:896
	v_add_f64 v[160:161], v[76:77], v[80:81]
	v_fma_f64 v[82:83], v[130:131], v[11:12], v[2:3]
	s_waitcnt vmcnt(1)
	v_mul_f64 v[0:1], v[154:155], v[9:10]
	v_add_f64 v[168:169], v[78:79], v[82:83]
	v_fma_f64 v[84:85], v[152:153], v[7:8], -v[0:1]
	v_mul_f64 v[0:1], v[152:153], v[9:10]
	buffer_store_dword v7, off, s[60:63], 0 offset:496 ; 4-byte Folded Spill
	buffer_store_dword v8, off, s[60:63], 0 offset:500 ; 4-byte Folded Spill
	;; [unrolled: 1-line block ×4, first 2 shown]
	v_add_f64 v[152:153], v[41:42], v[61:62]
	s_waitcnt vmcnt(0)
	s_waitcnt_vscnt null, 0x0
	s_barrier
	buffer_gl0_inv
	v_add_f64 v[41:42], v[41:42], -v[61:62]
	v_fma_f64 v[86:87], v[154:155], v[7:8], v[0:1]
	v_mul_f64 v[0:1], v[150:151], v[146:147]
	v_add_f64 v[154:155], v[45:46], v[57:58]
	v_add_f64 v[166:167], v[74:75], v[86:87]
	v_fma_f64 v[88:89], v[148:149], v[144:145], -v[0:1]
	v_mul_f64 v[0:1], v[148:149], v[146:147]
	v_add_f64 v[148:149], v[47:48], v[51:52]
	v_fma_f64 v[90:91], v[150:151], v[144:145], v[0:1]
	v_add_f64 v[0:1], v[94:95], v[92:93]
	v_add_f64 v[164:165], v[70:71], v[90:91]
	;; [unrolled: 1-line block ×4, first 2 shown]
	v_add_f64 v[70:71], v[70:71], -v[90:91]
	v_add_f64 v[7:8], v[140:141], v[98:99]
	v_add_f64 v[106:107], v[104:105], v[0:1]
	;; [unrolled: 1-line block ×3, first 2 shown]
	v_add_f64 v[39:40], v[39:40], -v[59:60]
	v_fma_f64 v[98:99], v[98:99], s[20:21], v[7:8]
	v_add_f64 v[9:10], v[142:143], v[106:107]
	v_add_f64 v[142:143], v[43:44], v[55:56]
	ds_write_b128 v117, v[7:10]
	v_add_f64 v[0:1], v[142:143], v[140:141]
	v_add_f64 v[6:7], v[19:20], -v[31:32]
	v_add_f64 v[19:20], v[27:28], -v[23:24]
	v_fma_f64 v[106:107], v[106:107], s[20:21], v[9:10]
	v_add_f64 v[23:24], v[15:16], -v[35:36]
	v_add_f64 v[8:9], v[21:22], -v[33:34]
	v_add_f64 v[21:22], v[29:30], -v[25:26]
	v_add_f64 v[25:26], v[17:18], -v[37:38]
	v_add_f64 v[27:28], v[94:95], -v[92:93]
	v_add_f64 v[29:30], v[96:97], -v[94:95]
	v_add_f64 v[92:93], v[92:93], -v[96:97]
	v_add_f64 v[96:97], v[100:101], -v[104:105]
	v_add_f64 v[31:32], v[102:103], -v[100:101]
	v_add_f64 v[33:34], v[104:105], -v[102:103]
	v_add_f64 v[150:151], v[148:149], v[0:1]
	v_add_f64 v[0:1], v[154:155], v[152:153]
	v_add_f64 v[17:18], v[19:20], -v[6:7]
	v_add_f64 v[15:16], v[19:20], v[6:7]
	v_add_f64 v[35:36], v[6:7], -v[23:24]
	v_add_f64 v[100:101], v[23:24], -v[19:20]
	v_add_f64 v[6:7], v[21:22], v[8:9]
	v_add_f64 v[94:95], v[8:9], -v[25:26]
	v_add_f64 v[37:38], v[21:22], -v[8:9]
	v_add_f64 v[104:105], v[25:26], -v[21:22]
	v_mul_f64 v[8:9], v[33:34], s[8:9]
	v_add_f64 v[158:159], v[156:157], v[0:1]
	v_add_f64 v[0:1], v[124:125], v[150:151]
	;; [unrolled: 1-line block ×4, first 2 shown]
	v_mul_f64 v[19:20], v[35:36], s[18:19]
	v_mul_f64 v[21:22], v[94:95], s[18:19]
	;; [unrolled: 1-line block ×3, first 2 shown]
	v_fma_f64 v[8:9], v[31:32], s[22:23], -v[8:9]
	v_add_f64 v[2:3], v[126:127], v[158:159]
	v_add_f64 v[126:127], v[72:73], v[84:85]
	v_fma_f64 v[19:20], v[100:101], s[30:31], -v[19:20]
	v_fma_f64 v[21:22], v[104:105], s[30:31], -v[21:22]
	v_add_f64 v[174:175], v[8:9], v[106:107]
	v_add_f64 v[11:12], v[126:127], v[124:125]
	;; [unrolled: 1-line block ×7, first 2 shown]
	v_mul_f64 v[6:7], v[29:30], s[8:9]
	v_add_f64 v[13:14], v[134:135], v[170:171]
	v_mul_f64 v[134:135], v[17:18], s[24:25]
	v_fma_f64 v[6:7], v[27:28], s[22:23], -v[6:7]
	v_fma_f64 v[15:16], v[35:36], s[18:19], -v[134:135]
	v_mul_f64 v[35:36], v[92:93], s[26:27]
	v_mul_f64 v[92:93], v[96:97], s[26:27]
	v_add_f64 v[172:173], v[6:7], v[98:99]
	v_fma_f64 v[96:97], v[150:151], s[20:21], v[0:1]
	v_fma_f64 v[17:18], v[102:103], s[10:11], v[15:16]
	v_fma_f64 v[23:24], v[27:28], s[28:29], -v[35:36]
	v_fma_f64 v[25:26], v[31:32], s[28:29], -v[92:93]
	v_fma_f64 v[27:28], v[102:103], s[10:11], v[19:20]
	v_fma_f64 v[31:32], v[132:133], s[10:11], v[21:22]
	;; [unrolled: 1-line block ×4, first 2 shown]
	v_fma_f64 v[15:16], v[94:95], s[18:19], -v[37:38]
	v_add_f64 v[8:9], v[17:18], v[174:175]
	v_add_f64 v[23:24], v[23:24], v[98:99]
	;; [unrolled: 1-line block ×3, first 2 shown]
	v_add_f64 v[17:18], v[174:175], -v[17:18]
	v_add_f64 v[33:34], v[33:34], v[106:107]
	v_fma_f64 v[15:16], v[132:133], s[10:11], v[15:16]
	v_add_f64 v[19:20], v[31:32], v[23:24]
	v_add_f64 v[21:22], v[25:26], -v[27:28]
	v_add_f64 v[23:24], v[23:24], -v[31:32]
	v_add_f64 v[25:26], v[27:28], v[25:26]
	v_fma_f64 v[27:28], v[100:101], s[16:17], v[134:135]
	v_fma_f64 v[31:32], v[104:105], s[16:17], v[37:38]
	v_add_f64 v[37:38], v[29:30], v[98:99]
	v_fma_f64 v[98:99], v[158:159], s[20:21], v[2:3]
	v_add_f64 v[6:7], v[172:173], -v[15:16]
	v_add_f64 v[15:16], v[15:16], v[172:173]
	v_fma_f64 v[35:36], v[102:103], s[10:11], v[27:28]
	v_fma_f64 v[31:32], v[132:133], s[10:11], v[31:32]
	v_add_f64 v[29:30], v[33:34], -v[35:36]
	v_add_f64 v[27:28], v[31:32], v[37:38]
	v_add_f64 v[31:32], v[37:38], -v[31:32]
	v_add_f64 v[33:34], v[35:36], v[33:34]
	v_add_f64 v[35:36], v[43:44], -v[55:56]
	v_add_f64 v[37:38], v[51:52], -v[47:48]
	v_add_f64 v[43:44], v[45:46], -v[57:58]
	v_add_f64 v[45:46], v[53:54], -v[49:50]
	v_add_f64 v[49:50], v[148:149], -v[142:143]
	v_add_f64 v[53:54], v[156:157], -v[154:155]
	v_add_f64 v[47:48], v[142:143], -v[140:141]
	v_add_f64 v[51:52], v[154:155], -v[152:153]
	v_add_f64 v[57:58], v[37:38], -v[35:36]
	v_add_f64 v[55:56], v[37:38], v[35:36]
	v_add_f64 v[61:62], v[45:46], -v[43:44]
	v_add_f64 v[35:36], v[35:36], -v[39:40]
	v_add_f64 v[59:60], v[45:46], v[43:44]
	v_add_f64 v[43:44], v[43:44], -v[41:42]
	v_mul_f64 v[92:93], v[49:50], s[8:9]
	v_mul_f64 v[94:95], v[53:54], s[8:9]
	v_add_f64 v[45:46], v[41:42], -v[45:46]
	v_mul_f64 v[57:58], v[57:58], s[24:25]
	v_add_f64 v[55:56], v[55:56], v[39:40]
	v_mul_f64 v[61:62], v[61:62], s[24:25]
	v_add_f64 v[59:60], v[59:60], v[41:42]
	v_fma_f64 v[92:93], v[47:48], s[22:23], -v[92:93]
	v_fma_f64 v[94:95], v[51:52], s[22:23], -v[94:95]
	;; [unrolled: 1-line block ×3, first 2 shown]
	v_mul_f64 v[35:36], v[35:36], s[18:19]
	v_fma_f64 v[102:103], v[43:44], s[18:19], -v[61:62]
	v_add_f64 v[92:93], v[92:93], v[96:97]
	v_add_f64 v[94:95], v[94:95], v[98:99]
	v_fma_f64 v[100:101], v[55:56], s[10:11], v[100:101]
	v_fma_f64 v[102:103], v[59:60], s[10:11], v[102:103]
	v_add_f64 v[114:115], v[100:101], v[94:95]
	v_add_f64 v[65:66], v[94:95], -v[100:101]
	v_add_f64 v[112:113], v[92:93], -v[102:103]
	v_add_f64 v[63:64], v[102:103], v[92:93]
	v_add_f64 v[92:93], v[140:141], -v[148:149]
	v_add_f64 v[94:95], v[152:153], -v[156:157]
	;; [unrolled: 1-line block ×3, first 2 shown]
	v_mul_f64 v[37:38], v[43:44], s[18:19]
	buffer_store_dword v63, off, s[60:63], 0 offset:12 ; 4-byte Folded Spill
	buffer_store_dword v64, off, s[60:63], 0 offset:16 ; 4-byte Folded Spill
	;; [unrolled: 1-line block ×4, first 2 shown]
	v_mul_f64 v[43:44], v[92:93], s[26:27]
	v_mul_f64 v[92:93], v[94:95], s[26:27]
	v_fma_f64 v[35:36], v[100:101], s[30:31], -v[35:36]
	v_fma_f64 v[37:38], v[45:46], s[30:31], -v[37:38]
	v_fma_f64 v[94:95], v[162:163], s[20:21], v[11:12]
	v_fma_f64 v[102:103], v[170:171], s[20:21], v[13:14]
	v_fma_f64 v[39:40], v[47:48], s[28:29], -v[43:44]
	v_fma_f64 v[41:42], v[51:52], s[28:29], -v[92:93]
	v_fma_f64 v[35:36], v[55:56], s[10:11], v[35:36]
	v_fma_f64 v[37:38], v[59:60], s[10:11], v[37:38]
	v_add_f64 v[47:48], v[80:81], -v[76:77]
	v_add_f64 v[51:52], v[68:69], -v[88:89]
	;; [unrolled: 1-line block ×5, first 2 shown]
	v_add_f64 v[39:40], v[39:40], v[96:97]
	v_add_f64 v[41:42], v[41:42], v[98:99]
	;; [unrolled: 1-line block ×3, first 2 shown]
	v_add_f64 v[37:38], v[39:40], -v[37:38]
	v_add_f64 v[39:40], v[35:36], v[41:42]
	v_add_f64 v[202:203], v[41:42], -v[35:36]
	v_add_f64 v[35:36], v[72:73], -v[84:85]
	buffer_store_dword v37, off, s[60:63], 0 offset:28 ; 4-byte Folded Spill
	buffer_store_dword v38, off, s[60:63], 0 offset:32 ; 4-byte Folded Spill
	;; [unrolled: 1-line block ×4, first 2 shown]
	v_add_f64 v[37:38], v[74:75], -v[86:87]
	v_add_f64 v[41:42], v[47:48], -v[35:36]
	v_add_f64 v[39:40], v[47:48], v[35:36]
	v_add_f64 v[80:81], v[35:36], -v[51:52]
	v_add_f64 v[72:73], v[126:127], -v[124:125]
	v_add_f64 v[74:75], v[166:167], -v[164:165]
	v_add_f64 v[47:48], v[51:52], -v[47:48]
	ds_write_b128 v117, v[27:30] offset:1088
	ds_write_b128 v117, v[19:22] offset:2176
	;; [unrolled: 1-line block ×6, first 2 shown]
	v_mov_b32_e32 v6, 0x1dc
	v_mul_u32_u24_sdwa v4, v4, v6 dst_sel:DWORD dst_unused:UNUSED_PAD src0_sel:WORD_0 src1_sel:DWORD
	v_fma_f64 v[6:7], v[45:46], s[16:17], v[61:62]
	v_add_lshl_u32 v139, v4, v5, 4
	v_fma_f64 v[4:5], v[100:101], s[16:17], v[57:58]
	v_add_f64 v[35:36], v[68:69], v[37:38]
	v_add_f64 v[82:83], v[68:69], -v[37:38]
	v_mul_f64 v[90:91], v[41:42], s[24:25]
	v_add_f64 v[84:85], v[37:38], -v[70:71]
	v_add_f64 v[86:87], v[39:40], v[51:52]
	v_mul_f64 v[37:38], v[78:79], s[8:9]
	v_add_f64 v[51:52], v[70:71], -v[68:69]
	v_mul_f64 v[68:69], v[80:81], s[18:19]
	v_fma_f64 v[8:9], v[55:56], s[10:11], v[4:5]
	v_fma_f64 v[4:5], v[59:60], s[10:11], v[6:7]
	v_add_f64 v[88:89], v[35:36], v[70:71]
	v_mul_f64 v[82:83], v[82:83], s[24:25]
	v_mul_f64 v[35:36], v[76:77], s[8:9]
	v_fma_f64 v[39:40], v[80:81], s[18:19], -v[90:91]
	v_mul_f64 v[70:71], v[84:85], s[18:19]
	v_fma_f64 v[37:38], v[74:75], s[22:23], -v[37:38]
	v_fma_f64 v[68:69], v[47:48], s[30:31], -v[68:69]
	v_fma_f64 v[47:48], v[47:48], s[16:17], v[90:91]
	v_fma_f64 v[35:36], v[72:73], s[22:23], -v[35:36]
	v_fma_f64 v[41:42], v[86:87], s[10:11], v[39:40]
	v_fma_f64 v[39:40], v[84:85], s[18:19], -v[82:83]
	v_add_f64 v[106:107], v[37:38], v[102:103]
	v_fma_f64 v[70:71], v[51:52], s[30:31], -v[70:71]
	v_fma_f64 v[51:52], v[51:52], s[16:17], v[82:83]
	v_fma_f64 v[47:48], v[86:87], s[10:11], v[47:48]
	v_add_f64 v[104:105], v[35:36], v[94:95]
	v_fma_f64 v[39:40], v[88:89], s[10:11], v[39:40]
	v_add_f64 v[37:38], v[41:42], v[106:107]
	v_add_f64 v[41:42], v[106:107], -v[41:42]
	v_add_f64 v[106:107], v[164:165], -v[168:169]
	v_fma_f64 v[51:52], v[88:89], s[10:11], v[51:52]
	v_add_f64 v[35:36], v[104:105], -v[39:40]
	v_add_f64 v[39:40], v[39:40], v[104:105]
	v_add_f64 v[104:105], v[124:125], -v[160:161]
	v_mul_f64 v[84:85], v[106:107], s[26:27]
	v_fma_f64 v[106:107], v[88:89], s[10:11], v[70:71]
	v_mul_f64 v[80:81], v[104:105], s[26:27]
	v_fma_f64 v[78:79], v[78:79], s[8:9], v[84:85]
	v_fma_f64 v[74:75], v[74:75], s[28:29], -v[84:85]
	v_fma_f64 v[104:105], v[86:87], s[10:11], v[68:69]
	v_fma_f64 v[76:77], v[76:77], s[8:9], v[80:81]
	v_fma_f64 v[72:73], v[72:73], s[28:29], -v[80:81]
	v_add_f64 v[82:83], v[78:79], v[102:103]
	v_add_f64 v[74:75], v[74:75], v[102:103]
	;; [unrolled: 1-line block ×4, first 2 shown]
	v_add_f64 v[78:79], v[82:83], -v[47:48]
	v_add_f64 v[70:71], v[74:75], -v[104:105]
	v_add_f64 v[74:75], v[104:105], v[74:75]
	v_add_f64 v[82:83], v[47:48], v[82:83]
	v_add_f64 v[76:77], v[51:52], v[80:81]
	ds_write_b128 v139, v[11:14]
	ds_write_b128 v139, v[76:79] offset:1088
	v_fma_f64 v[10:11], v[49:50], s[8:9], v[43:44]
	v_fma_f64 v[12:13], v[53:54], s[8:9], v[92:93]
	v_add_f64 v[68:69], v[106:107], v[72:73]
	v_add_f64 v[72:73], v[72:73], -v[106:107]
	v_add_f64 v[80:81], v[80:81], -v[51:52]
	v_add_f64 v[6:7], v[10:11], v[96:97]
	v_add_f64 v[10:11], v[12:13], v[98:99]
	ds_write_b128 v139, v[68:71] offset:2176
	ds_write_b128 v139, v[35:38] offset:3264
	;; [unrolled: 1-line block ×5, first 2 shown]
	v_add_f64 v[127:128], v[6:7], -v[4:5]
	v_add_f64 v[129:130], v[8:9], v[10:11]
	s_and_saveexec_b32 s1, s0
	s_cbranch_execz .LBB0_11
; %bb.10:
	v_add_f64 v[6:7], v[4:5], v[6:7]
	buffer_load_dword v5, off, s[60:63], 0 offset:324 ; 4-byte Folded Reload
	v_mov_b32_e32 v4, 4
	v_add_f64 v[8:9], v[10:11], -v[8:9]
	s_waitcnt vmcnt(0)
	v_lshlrev_b32_sdwa v4, v4, v5 dst_sel:DWORD dst_unused:UNUSED_PAD src0_sel:DWORD src1_sel:WORD_0
	ds_write_b128 v4, v[0:3] offset:22848
	ds_write_b128 v4, v[200:203] offset:25024
	;; [unrolled: 1-line block ×3, first 2 shown]
	s_clause 0x3
	buffer_load_dword v0, off, s[60:63], 0 offset:12
	buffer_load_dword v1, off, s[60:63], 0 offset:16
	;; [unrolled: 1-line block ×4, first 2 shown]
	s_waitcnt vmcnt(0)
	ds_write_b128 v4, v[0:3] offset:27200
	s_clause 0x3
	buffer_load_dword v0, off, s[60:63], 0 offset:28
	buffer_load_dword v1, off, s[60:63], 0 offset:32
	;; [unrolled: 1-line block ×4, first 2 shown]
	s_waitcnt vmcnt(0)
	ds_write_b128 v4, v[0:3] offset:28288
	ds_write_b128 v4, v[6:9] offset:23936
	;; [unrolled: 1-line block ×3, first 2 shown]
.LBB0_11:
	s_or_b32 exec_lo, exec_lo, s1
	v_mad_u64_u32 v[0:1], null, v208, 48, s[2:3]
	buffer_store_dword v208, off, s[60:63], 0 offset:8 ; 4-byte Folded Spill
	s_waitcnt lgkmcnt(0)
	s_waitcnt_vscnt null, 0x0
	s_barrier
	buffer_gl0_inv
	v_add_co_u32 v2, s1, 0x1800, v0
	v_add_co_ci_u32_e64 v3, s1, 0, v1, s1
	v_add_co_u32 v4, s1, 0x1cb0, v0
	v_add_co_ci_u32_e64 v5, s1, 0, v1, s1
	s_clause 0x1
	global_load_dwordx4 v[123:126], v[2:3], off offset:1200
	global_load_dwordx4 v[131:134], v[4:5], off offset:16
	v_add_co_u32 v2, s1, 0x3000, v0
	v_add_co_ci_u32_e64 v3, s1, 0, v1, s1
	v_add_co_u32 v6, s1, 0x3300, v0
	v_add_co_ci_u32_e64 v7, s1, 0, v1, s1
	s_clause 0x2
	global_load_dwordx4 v[160:163], v[4:5], off offset:32
	global_load_dwordx4 v[152:155], v[2:3], off offset:768
	global_load_dwordx4 v[156:159], v[6:7], off offset:16
	v_add_co_u32 v2, s1, 0x4800, v0
	v_add_co_ci_u32_e64 v3, s1, 0, v1, s1
	v_add_co_u32 v4, s1, 0x4950, v0
	v_add_co_ci_u32_e64 v5, s1, 0, v1, s1
	s_clause 0x2
	global_load_dwordx4 v[172:175], v[6:7], off offset:32
	;; [unrolled: 8-line block ×3, first 2 shown]
	global_load_dwordx4 v[192:195], v[2:3], off offset:1952
	global_load_dwordx4 v[188:191], v[0:1], off offset:16
	;; [unrolled: 1-line block ×3, first 2 shown]
	ds_read_b128 v[0:3], v116 offset:7616
	ds_read_b128 v[4:7], v116 offset:15232
	;; [unrolled: 1-line block ×12, first 2 shown]
	s_waitcnt vmcnt(11) lgkmcnt(11)
	v_mul_f64 v[44:45], v[2:3], v[125:126]
	s_waitcnt vmcnt(10) lgkmcnt(10)
	v_mul_f64 v[48:49], v[6:7], v[133:134]
	v_mul_f64 v[46:47], v[0:1], v[125:126]
	;; [unrolled: 1-line block ×3, first 2 shown]
	s_waitcnt vmcnt(9) lgkmcnt(9)
	v_mul_f64 v[52:53], v[10:11], v[162:163]
	v_mul_f64 v[54:55], v[8:9], v[162:163]
	s_waitcnt vmcnt(8) lgkmcnt(8)
	v_mul_f64 v[56:57], v[14:15], v[154:155]
	s_waitcnt vmcnt(7) lgkmcnt(7)
	v_mul_f64 v[60:61], v[18:19], v[158:159]
	v_mul_f64 v[62:63], v[16:17], v[158:159]
	;; [unrolled: 1-line block ×3, first 2 shown]
	s_waitcnt vmcnt(6) lgkmcnt(6)
	v_mul_f64 v[72:73], v[22:23], v[174:175]
	v_mul_f64 v[74:75], v[20:21], v[174:175]
	s_waitcnt vmcnt(5) lgkmcnt(5)
	v_mul_f64 v[76:77], v[26:27], v[170:171]
	v_fma_f64 v[44:45], v[0:1], v[123:124], -v[44:45]
	v_mul_f64 v[0:1], v[24:25], v[170:171]
	s_waitcnt vmcnt(4) lgkmcnt(4)
	v_mul_f64 v[78:79], v[30:31], v[178:179]
	v_fma_f64 v[48:49], v[4:5], v[131:132], -v[48:49]
	v_mul_f64 v[4:5], v[28:29], v[178:179]
	v_fma_f64 v[46:47], v[2:3], v[123:124], v[46:47]
	v_fma_f64 v[50:51], v[6:7], v[131:132], v[50:51]
	s_waitcnt vmcnt(3) lgkmcnt(3)
	v_mul_f64 v[80:81], v[34:35], v[186:187]
	v_fma_f64 v[52:53], v[8:9], v[160:161], -v[52:53]
	v_fma_f64 v[54:55], v[10:11], v[160:161], v[54:55]
	v_mul_f64 v[8:9], v[32:33], v[186:187]
	s_waitcnt vmcnt(2) lgkmcnt(1)
	v_mul_f64 v[10:11], v[38:39], v[194:195]
	v_fma_f64 v[56:57], v[12:13], v[152:153], -v[56:57]
	v_mul_f64 v[12:13], v[36:37], v[194:195]
	s_waitcnt vmcnt(1) lgkmcnt(0)
	v_mul_f64 v[82:83], v[42:43], v[190:191]
	v_fma_f64 v[16:17], v[16:17], v[156:157], -v[60:61]
	v_fma_f64 v[18:19], v[18:19], v[156:157], v[62:63]
	v_mul_f64 v[60:61], v[40:41], v[190:191]
	s_waitcnt vmcnt(0)
	v_mul_f64 v[62:63], v[70:71], v[198:199]
	v_fma_f64 v[20:21], v[20:21], v[172:173], -v[72:73]
	v_mul_f64 v[72:73], v[68:69], v[198:199]
	v_fma_f64 v[58:59], v[14:15], v[152:153], v[58:59]
	v_fma_f64 v[22:23], v[22:23], v[172:173], v[74:75]
	v_fma_f64 v[24:25], v[24:25], v[168:169], -v[76:77]
	v_fma_f64 v[26:27], v[26:27], v[168:169], v[0:1]
	v_fma_f64 v[28:29], v[28:29], v[176:177], -v[78:79]
	v_fma_f64 v[30:31], v[30:31], v[176:177], v[4:5]
	ds_read_b128 v[0:3], v116
	ds_read_b128 v[4:7], v116 offset:1904
	v_fma_f64 v[32:33], v[32:33], v[184:185], -v[80:81]
	v_add_f64 v[52:53], v[44:45], -v[52:53]
	v_add_f64 v[54:55], v[46:47], -v[54:55]
	v_fma_f64 v[34:35], v[34:35], v[184:185], v[8:9]
	v_fma_f64 v[36:37], v[36:37], v[192:193], -v[10:11]
	v_fma_f64 v[38:39], v[38:39], v[192:193], v[12:13]
	v_fma_f64 v[40:41], v[40:41], v[188:189], -v[82:83]
	ds_read_b128 v[8:11], v116 offset:3808
	ds_read_b128 v[12:15], v116 offset:5712
	v_fma_f64 v[42:43], v[42:43], v[188:189], v[60:61]
	v_fma_f64 v[60:61], v[68:69], v[196:197], -v[62:63]
	v_add_f64 v[20:21], v[56:57], -v[20:21]
	v_fma_f64 v[62:63], v[70:71], v[196:197], v[72:73]
	v_add_f64 v[22:23], v[58:59], -v[22:23]
	s_waitcnt lgkmcnt(3)
	v_add_f64 v[48:49], v[0:1], -v[48:49]
	v_add_f64 v[50:51], v[2:3], -v[50:51]
	s_waitcnt lgkmcnt(2)
	v_add_f64 v[16:17], v[4:5], -v[16:17]
	v_add_f64 v[18:19], v[6:7], -v[18:19]
	;; [unrolled: 1-line block ×3, first 2 shown]
	v_fma_f64 v[44:45], v[44:45], 2.0, -v[52:53]
	v_fma_f64 v[46:47], v[46:47], 2.0, -v[54:55]
	v_add_f64 v[34:35], v[26:27], -v[34:35]
	s_waitcnt lgkmcnt(1)
	v_add_f64 v[28:29], v[8:9], -v[28:29]
	v_add_f64 v[30:31], v[10:11], -v[30:31]
	s_waitcnt lgkmcnt(0)
	v_add_f64 v[40:41], v[12:13], -v[40:41]
	v_add_f64 v[42:43], v[14:15], -v[42:43]
	;; [unrolled: 1-line block ×3, first 2 shown]
	v_fma_f64 v[56:57], v[56:57], 2.0, -v[20:21]
	v_add_f64 v[62:63], v[38:39], -v[62:63]
	v_fma_f64 v[58:59], v[58:59], 2.0, -v[22:23]
	v_fma_f64 v[0:1], v[0:1], 2.0, -v[48:49]
	;; [unrolled: 1-line block ×6, first 2 shown]
	v_add_f64 v[248:249], v[48:49], -v[54:55]
	v_add_f64 v[250:251], v[50:51], v[52:53]
	v_fma_f64 v[26:27], v[26:27], 2.0, -v[34:35]
	v_add_f64 v[236:237], v[16:17], -v[22:23]
	v_fma_f64 v[8:9], v[8:9], 2.0, -v[28:29]
	v_fma_f64 v[10:11], v[10:11], 2.0, -v[30:31]
	;; [unrolled: 1-line block ×3, first 2 shown]
	v_add_f64 v[238:239], v[18:19], v[20:21]
	v_add_f64 v[224:225], v[28:29], -v[34:35]
	v_fma_f64 v[14:15], v[14:15], 2.0, -v[42:43]
	v_fma_f64 v[36:37], v[36:37], 2.0, -v[60:61]
	v_add_f64 v[226:227], v[30:31], v[32:33]
	v_fma_f64 v[38:39], v[38:39], 2.0, -v[62:63]
	v_add_f64 v[212:213], v[40:41], -v[62:63]
	v_add_f64 v[214:215], v[42:43], v[60:61]
	v_add_f64 v[148:149], v[0:1], -v[44:45]
	v_add_f64 v[150:151], v[2:3], -v[46:47]
	;; [unrolled: 1-line block ×4, first 2 shown]
	v_fma_f64 v[180:181], v[48:49], 2.0, -v[248:249]
	v_fma_f64 v[182:183], v[50:51], 2.0, -v[250:251]
	v_fma_f64 v[140:141], v[16:17], 2.0, -v[236:237]
	v_add_f64 v[232:233], v[8:9], -v[24:25]
	v_add_f64 v[234:235], v[10:11], -v[26:27]
	v_fma_f64 v[142:143], v[18:19], 2.0, -v[238:239]
	v_fma_f64 v[240:241], v[28:29], 2.0, -v[224:225]
	v_add_f64 v[216:217], v[12:13], -v[36:37]
	v_fma_f64 v[242:243], v[30:31], 2.0, -v[226:227]
	v_add_f64 v[218:219], v[14:15], -v[38:39]
	v_fma_f64 v[220:221], v[40:41], 2.0, -v[212:213]
	v_fma_f64 v[222:223], v[42:43], 2.0, -v[214:215]
	;; [unrolled: 1-line block ×10, first 2 shown]
	ds_write_b128 v116, v[248:251] offset:22848
	ds_write_b128 v116, v[236:239] offset:24752
	;; [unrolled: 1-line block ×12, first 2 shown]
	ds_write_b128 v116, v[208:211]
	ds_write_b128 v116, v[164:167] offset:1904
	ds_write_b128 v116, v[252:255] offset:3808
	;; [unrolled: 1-line block ×3, first 2 shown]
	s_waitcnt lgkmcnt(0)
	s_barrier
	buffer_gl0_inv
	s_and_saveexec_b32 s8, vcc_lo
	s_cbranch_execz .LBB0_13
; %bb.12:
	s_add_u32 s2, s12, 0x7700
	s_addc_u32 s3, s13, 0
	v_add_co_u32 v8, s1, s2, v118
	s_clause 0x1
	global_load_dwordx4 v[68:71], v118, s[2:3]
	global_load_dwordx4 v[204:207], v118, s[2:3] offset:1792
	v_add_co_ci_u32_e64 v9, null, s3, 0, s1
	v_add_co_u32 v0, s1, 0x800, v8
	v_or_b32_e32 v14, 0x3800, v118
	v_add_co_ci_u32_e64 v1, s1, 0, v9, s1
	v_add_co_u32 v2, s1, 0x1000, v8
	v_add_co_ci_u32_e64 v3, s1, 0, v9, s1
	v_add_co_u32 v10, s1, 0x1800, v8
	;; [unrolled: 2-line block ×3, first 2 shown]
	v_add_co_ci_u32_e64 v13, s1, 0, v9, s1
	s_clause 0x2
	global_load_dwordx4 v[4:7], v[0:1], off offset:1536
	global_load_dwordx4 v[0:3], v[2:3], off offset:1280
	;; [unrolled: 1-line block ×3, first 2 shown]
	v_or_b32_e32 v38, 0x7000, v118
	global_load_dwordx4 v[84:87], v[12:13], off offset:768
	v_add_co_u32 v10, s1, 0x2800, v8
	v_add_co_ci_u32_e64 v11, s1, 0, v9, s1
	v_add_co_u32 v12, s1, 0x3000, v8
	v_add_co_ci_u32_e64 v13, s1, 0, v9, s1
	s_clause 0x2
	global_load_dwordx4 v[76:79], v[10:11], off offset:512
	global_load_dwordx4 v[72:75], v14, s[2:3]
	global_load_dwordx4 v[80:83], v[12:13], off offset:256
	v_add_co_u32 v10, s1, 0x3800, v8
	v_add_co_ci_u32_e64 v11, s1, 0, v9, s1
	v_add_co_u32 v14, s1, 0x4000, v8
	v_add_co_ci_u32_e64 v15, s1, 0, v9, s1
	;; [unrolled: 2-line block ×6, first 2 shown]
	global_load_dwordx4 v[10:13], v[10:11], off offset:1792
	v_add_co_u32 v8, s1, 0x6800, v8
	s_clause 0x1
	global_load_dwordx4 v[14:17], v[14:15], off offset:1536
	global_load_dwordx4 v[18:21], v[18:19], off offset:1280
	v_add_co_ci_u32_e64 v9, s1, 0, v9, s1
	s_clause 0x4
	global_load_dwordx4 v[22:25], v[22:23], off offset:1024
	global_load_dwordx4 v[26:29], v[26:27], off offset:768
	;; [unrolled: 1-line block ×4, first 2 shown]
	global_load_dwordx4 v[38:41], v38, s[2:3]
	ds_read_b128 v[42:45], v116
	v_mov_b32_e32 v138, v115
	v_mov_b32_e32 v137, v114
	;; [unrolled: 1-line block ×4, first 2 shown]
	s_waitcnt vmcnt(16) lgkmcnt(0)
	v_mul_f64 v[8:9], v[44:45], v[70:71]
	v_mul_f64 v[46:47], v[42:43], v[70:71]
	v_fma_f64 v[42:43], v[42:43], v[68:69], -v[8:9]
	v_fma_f64 v[44:45], v[44:45], v[68:69], v[46:47]
	ds_write_b128 v116, v[42:45]
	ds_read_b128 v[42:45], v118 offset:1792
	ds_read_b128 v[68:71], v118 offset:3584
	;; [unrolled: 1-line block ×7, first 2 shown]
	s_waitcnt vmcnt(15) lgkmcnt(6)
	v_mul_f64 v[62:63], v[44:45], v[206:207]
	v_mul_f64 v[96:97], v[42:43], v[206:207]
	s_waitcnt vmcnt(14) lgkmcnt(5)
	v_mul_f64 v[100:101], v[70:71], v[6:7]
	v_mul_f64 v[102:103], v[68:69], v[6:7]
	s_waitcnt vmcnt(13) lgkmcnt(4)
	v_mul_f64 v[104:105], v[48:49], v[2:3]
	ds_read_b128 v[6:9], v118 offset:12544
	v_mul_f64 v[106:107], v[46:47], v[2:3]
	s_waitcnt vmcnt(12) lgkmcnt(4)
	v_mul_f64 v[108:109], v[52:53], v[90:91]
	v_mul_f64 v[90:91], v[50:51], v[90:91]
	s_waitcnt vmcnt(11) lgkmcnt(3)
	v_mul_f64 v[110:111], v[56:57], v[86:87]
	;; [unrolled: 3-line block ×3, first 2 shown]
	v_fma_f64 v[42:43], v[42:43], v[204:205], -v[62:63]
	v_mul_f64 v[62:63], v[60:61], v[78:79]
	v_mul_f64 v[78:79], v[58:59], v[78:79]
	v_fma_f64 v[44:45], v[44:45], v[204:205], v[96:97]
	ds_read_b128 v[204:207], v118 offset:16128
	ds_read_b128 v[96:99], v118 offset:17920
	s_waitcnt vmcnt(8) lgkmcnt(2)
	v_mul_f64 v[64:65], v[6:7], v[82:83]
	v_fma_f64 v[46:47], v[46:47], v[0:1], -v[104:105]
	v_fma_f64 v[48:49], v[48:49], v[0:1], v[106:107]
	v_mul_f64 v[0:1], v[94:95], v[74:75]
	v_fma_f64 v[2:3], v[68:69], v[4:5], -v[100:101]
	v_fma_f64 v[4:5], v[70:71], v[4:5], v[102:103]
	v_mul_f64 v[114:115], v[8:9], v[82:83]
	ds_read_b128 v[68:71], v118 offset:19712
	ds_read_b128 v[100:103], v118 offset:21504
	v_fma_f64 v[50:51], v[50:51], v[88:89], -v[108:109]
	v_fma_f64 v[52:53], v[52:53], v[88:89], v[90:91]
	ds_read_b128 v[86:89], v118 offset:23296
	ds_read_b128 v[104:107], v118 offset:25088
	v_fma_f64 v[54:55], v[54:55], v[84:85], -v[110:111]
	v_fma_f64 v[56:57], v[56:57], v[84:85], v[112:113]
	ds_read_b128 v[82:85], v118 offset:26880
	v_fma_f64 v[58:59], v[58:59], v[76:77], -v[62:63]
	v_fma_f64 v[60:61], v[60:61], v[76:77], v[78:79]
	ds_read_b128 v[74:77], v118 offset:28672
	s_waitcnt vmcnt(7) lgkmcnt(7)
	v_mul_f64 v[90:91], v[206:207], v[12:13]
	v_mul_f64 v[12:13], v[204:205], v[12:13]
	s_waitcnt vmcnt(6) lgkmcnt(6)
	v_mul_f64 v[62:63], v[98:99], v[16:17]
	v_mul_f64 v[16:17], v[96:97], v[16:17]
	v_fma_f64 v[8:9], v[8:9], v[80:81], v[64:65]
	v_fma_f64 v[78:79], v[92:93], v[72:73], -v[0:1]
	s_waitcnt vmcnt(5) lgkmcnt(5)
	v_mul_f64 v[64:65], v[70:71], v[20:21]
	v_mul_f64 v[20:21], v[68:69], v[20:21]
	s_waitcnt vmcnt(4) lgkmcnt(4)
	v_mul_f64 v[108:109], v[102:103], v[24:25]
	v_mul_f64 v[24:25], v[100:101], v[24:25]
	;; [unrolled: 3-line block ×3, first 2 shown]
	v_fma_f64 v[6:7], v[6:7], v[80:81], -v[114:115]
	v_fma_f64 v[80:81], v[94:95], v[72:73], v[66:67]
	s_waitcnt vmcnt(2) lgkmcnt(2)
	v_mul_f64 v[66:67], v[106:107], v[32:33]
	v_mul_f64 v[32:33], v[104:105], v[32:33]
	s_waitcnt vmcnt(1) lgkmcnt(1)
	v_mul_f64 v[72:73], v[84:85], v[36:37]
	v_mul_f64 v[36:37], v[82:83], v[36:37]
	v_mov_b32_e32 v112, v135
	s_waitcnt vmcnt(0) lgkmcnt(0)
	v_mul_f64 v[94:95], v[76:77], v[40:41]
	v_mul_f64 v[40:41], v[74:75], v[40:41]
	v_mov_b32_e32 v113, v136
	v_fma_f64 v[90:91], v[204:205], v[10:11], -v[90:91]
	v_fma_f64 v[92:93], v[206:207], v[10:11], v[12:13]
	v_fma_f64 v[10:11], v[96:97], v[14:15], -v[62:63]
	v_fma_f64 v[12:13], v[98:99], v[14:15], v[16:17]
	v_mov_b32_e32 v114, v137
	v_mov_b32_e32 v115, v138
	v_fma_f64 v[14:15], v[68:69], v[18:19], -v[64:65]
	v_fma_f64 v[16:17], v[70:71], v[18:19], v[20:21]
	v_fma_f64 v[18:19], v[100:101], v[22:23], -v[108:109]
	v_fma_f64 v[20:21], v[102:103], v[22:23], v[24:25]
	;; [unrolled: 2-line block ×6, first 2 shown]
	ds_write_b128 v118, v[42:45] offset:1792
	ds_write_b128 v118, v[2:5] offset:3584
	;; [unrolled: 1-line block ×16, first 2 shown]
.LBB0_13:
	s_or_b32 exec_lo, exec_lo, s8
	s_waitcnt lgkmcnt(0)
	s_barrier
	buffer_gl0_inv
	s_and_saveexec_b32 s1, vcc_lo
	s_cbranch_execz .LBB0_15
; %bb.14:
	ds_read_b128 v[208:211], v116
	ds_read_b128 v[180:183], v116 offset:1792
	ds_read_b128 v[148:151], v116 offset:3584
	;; [unrolled: 1-line block ×16, first 2 shown]
.LBB0_15:
	s_or_b32 exec_lo, exec_lo, s1
	s_waitcnt lgkmcnt(0)
	v_add_f64 v[38:39], v[182:183], -v[202:203]
	v_add_f64 v[40:41], v[202:203], v[182:183]
	s_mov_b32 s8, 0x5d8e7cdc
	s_mov_b32 s2, 0x370991
	;; [unrolled: 1-line block ×4, first 2 shown]
	v_add_f64 v[36:37], v[200:201], v[180:181]
	v_add_f64 v[6:7], v[150:151], -v[214:215]
	v_add_f64 v[42:43], v[180:181], -v[200:201]
	v_add_f64 v[74:75], v[214:215], v[150:151]
	s_mov_b32 s28, 0x2a9d6da3
	s_mov_b32 s10, 0x75d4884
	;; [unrolled: 1-line block ×4, first 2 shown]
	v_add_f64 v[4:5], v[212:213], v[148:149]
	v_add_f64 v[0:1], v[250:251], -v[218:219]
	v_add_f64 v[82:83], v[148:149], -v[212:213]
	v_add_f64 v[86:87], v[250:251], v[218:219]
	s_mov_b32 s34, 0x7c9e640b
	s_mov_b32 s16, 0x2b2883cd
	;; [unrolled: 1-line block ×4, first 2 shown]
	v_mul_f64 v[108:109], v[38:39], s[8:9]
	v_mul_f64 v[110:111], v[40:41], s[2:3]
	v_add_f64 v[2:3], v[248:249], v[216:217]
	v_add_f64 v[80:81], v[166:167], -v[222:223]
	v_add_f64 v[90:91], v[248:249], -v[216:217]
	s_mov_b32 s18, 0xeb564b22
	s_mov_b32 s19, 0xbfefdd0d
	v_mul_f64 v[137:138], v[6:7], s[28:29]
	v_add_f64 v[78:79], v[164:165], v[220:221]
	v_mul_f64 v[52:53], v[74:75], s[10:11]
	v_add_f64 v[16:17], v[166:167], v[222:223]
	s_mov_b32 s20, 0x3259b75e
	s_mov_b32 s21, 0x3fb79ee6
	v_add_f64 v[24:25], v[164:165], -v[220:221]
	s_mov_b32 s38, 0x923c349f
	v_mul_f64 v[48:49], v[0:1], s[34:35]
	s_mov_b32 s39, 0xbfeec746
	v_mul_f64 v[66:67], v[86:87], s[16:17]
	v_add_f64 v[30:31], v[230:231], v[142:143]
	s_mov_b32 s30, 0xc61f0d01
	s_mov_b32 s31, 0xbfd183b1
	v_add_f64 v[32:33], v[140:141], -v[228:229]
	v_fma_f64 v[8:9], v[36:37], s[2:3], -v[108:109]
	v_fma_f64 v[10:11], v[42:43], s[8:9], v[110:111]
	v_add_f64 v[22:23], v[246:247], -v[226:227]
	v_mul_f64 v[58:59], v[80:81], s[18:19]
	s_mov_b32 s24, 0x6c9a05f6
	s_mov_b32 s25, 0xbfe9895b
	v_add_f64 v[26:27], v[226:227], v[246:247]
	v_fma_f64 v[12:13], v[4:5], s[10:11], -v[137:138]
	s_mov_b32 s22, 0x6ed5f1bb
	v_fma_f64 v[14:15], v[82:83], s[28:29], v[52:53]
	v_mul_f64 v[60:61], v[16:17], s[20:21]
	s_mov_b32 s23, 0xbfe348c8
	v_add_f64 v[34:35], v[244:245], -v[224:225]
	s_mov_b32 s36, 0x4363dd80
	s_mov_b32 s37, 0xbfe0d888
	v_fma_f64 v[18:19], v[2:3], s[16:17], -v[48:49]
	v_add_f64 v[88:89], v[236:237], v[232:233]
	s_mov_b32 s26, 0x910ea3b9
	v_mul_f64 v[135:136], v[30:31], s[30:31]
	s_mov_b32 s27, 0xbfeb34fa
	v_add_f64 v[28:29], v[236:237], -v[232:233]
	v_add_f64 v[84:85], v[254:255], -v[242:243]
	v_add_f64 v[8:9], v[208:209], v[8:9]
	v_add_f64 v[10:11], v[210:211], v[10:11]
	v_mul_f64 v[64:65], v[22:23], s[24:25]
	s_mov_b32 s42, 0xacd6c6b4
	s_mov_b32 s43, 0xbfc7851a
	v_add_f64 v[72:73], v[252:253], v[240:241]
	v_mul_f64 v[94:95], v[26:27], s[22:23]
	s_mov_b32 s40, 0x7faef3
	s_mov_b32 s41, 0xbfef7484
	v_add_f64 v[76:77], v[254:255], v[242:243]
	s_barrier
	buffer_gl0_inv
	v_mul_f64 v[92:93], v[84:85], s[42:43]
	v_add_f64 v[8:9], v[12:13], v[8:9]
	v_add_f64 v[10:11], v[14:15], v[10:11]
	v_fma_f64 v[12:13], v[90:91], s[34:35], v[66:67]
	v_fma_f64 v[14:15], v[78:79], s[20:21], -v[58:59]
	v_mul_f64 v[50:51], v[76:77], s[40:41]
	v_add_f64 v[8:9], v[18:19], v[8:9]
	v_fma_f64 v[18:19], v[24:25], s[18:19], v[60:61]
	v_add_f64 v[12:13], v[12:13], v[10:11]
	v_add_f64 v[10:11], v[142:143], -v[230:231]
	v_add_f64 v[14:15], v[14:15], v[8:9]
	v_add_f64 v[8:9], v[228:229], v[140:141]
	;; [unrolled: 1-line block ×3, first 2 shown]
	v_mul_f64 v[56:57], v[10:11], s[38:39]
	v_fma_f64 v[18:19], v[8:9], s[30:31], -v[56:57]
	v_add_f64 v[14:15], v[18:19], v[14:15]
	v_fma_f64 v[18:19], v[32:33], s[38:39], v[135:136]
	v_add_f64 v[18:19], v[18:19], v[12:13]
	v_add_f64 v[12:13], v[224:225], v[244:245]
	v_fma_f64 v[20:21], v[12:13], s[22:23], -v[64:65]
	v_add_f64 v[14:15], v[20:21], v[14:15]
	v_fma_f64 v[20:21], v[34:35], s[24:25], v[94:95]
	v_add_f64 v[44:45], v[20:21], v[18:19]
	v_add_f64 v[20:21], v[238:239], -v[234:235]
	v_mul_f64 v[54:55], v[20:21], s[36:37]
	v_fma_f64 v[18:19], v[88:89], s[26:27], -v[54:55]
	v_add_f64 v[14:15], v[18:19], v[14:15]
	v_add_f64 v[18:19], v[238:239], v[234:235]
	v_mul_f64 v[62:63], v[18:19], s[26:27]
	v_fma_f64 v[46:47], v[28:29], s[36:37], v[62:63]
	v_add_f64 v[44:45], v[46:47], v[44:45]
	v_fma_f64 v[46:47], v[72:73], s[40:41], -v[92:93]
	v_add_f64 v[204:205], v[46:47], v[14:15]
	v_add_f64 v[14:15], v[252:253], -v[240:241]
	v_fma_f64 v[46:47], v[14:15], s[42:43], v[50:51]
	v_add_f64 v[206:207], v[46:47], v[44:45]
	s_and_saveexec_b32 s1, vcc_lo
	s_cbranch_execz .LBB0_17
; %bb.16:
	v_add_f64 v[46:47], v[208:209], v[180:181]
	v_add_f64 v[44:45], v[210:211], v[182:183]
	s_mov_b32 s45, 0x3fd71e95
	s_mov_b32 s44, s8
	buffer_store_dword v50, off, s[60:63], 0 offset:632 ; 4-byte Folded Spill
	buffer_store_dword v51, off, s[60:63], 0 offset:636 ; 4-byte Folded Spill
	s_mov_b32 s47, 0x3fe58eea
	s_mov_b32 s46, s28
	buffer_store_dword v92, off, s[60:63], 0 offset:640 ; 4-byte Folded Spill
	buffer_store_dword v93, off, s[60:63], 0 offset:644 ; 4-byte Folded Spill
	v_mul_f64 v[92:93], v[32:33], s[24:25]
	s_mov_b32 s49, 0x3feca52d
	s_mov_b32 s48, s34
	v_mul_f64 v[100:101], v[28:29], s[38:39]
	v_mul_f64 v[96:97], v[34:35], s[48:49]
	;; [unrolled: 1-line block ×4, first 2 shown]
	s_mov_b32 s53, 0x3fefdd0d
	s_mov_b32 s52, s18
	;; [unrolled: 1-line block ×3, first 2 shown]
	v_mul_f64 v[104:105], v[14:15], s[52:53]
	s_mov_b32 s50, s24
	s_mov_b32 s55, 0x3feec746
	;; [unrolled: 1-line block ×3, first 2 shown]
	v_add_f64 v[46:47], v[148:149], v[46:47]
	v_add_f64 v[44:45], v[150:151], v[44:45]
	s_mov_b32 s57, 0x3fe0d888
	s_mov_b32 s56, s36
	v_add_f64 v[46:47], v[248:249], v[46:47]
	v_add_f64 v[44:45], v[250:251], v[44:45]
	v_mov_b32_e32 v249, v61
	v_mov_b32_e32 v248, v60
	v_mov_b32_e32 v251, v63
	v_mov_b32_e32 v250, v62
	v_add_f64 v[46:47], v[164:165], v[46:47]
	v_add_f64 v[44:45], v[166:167], v[44:45]
	;; [unrolled: 1-line block ×6, first 2 shown]
	v_mov_b32_e32 v245, v57
	v_mov_b32_e32 v247, v59
	;; [unrolled: 1-line block ×4, first 2 shown]
	v_mul_f64 v[58:59], v[6:7], s[44:45]
	v_add_f64 v[46:47], v[236:237], v[46:47]
	v_add_f64 v[44:45], v[238:239], v[44:45]
	v_mov_b32_e32 v237, v49
	v_mov_b32_e32 v236, v48
	v_mul_f64 v[48:49], v[42:43], s[42:43]
	v_mov_b32_e32 v239, v95
	v_fma_f64 v[60:61], v[4:5], s[2:3], -v[58:59]
	v_mov_b32_e32 v238, v94
	v_mul_f64 v[94:95], v[10:11], s[24:25]
	v_add_f64 v[46:47], v[252:253], v[46:47]
	v_add_f64 v[44:45], v[254:255], v[44:45]
	v_mov_b32_e32 v253, v65
	v_mov_b32_e32 v252, v64
	v_fma_f64 v[50:51], v[40:41], s[40:41], v[48:49]
	v_fma_f64 v[48:49], v[40:41], s[40:41], -v[48:49]
	v_mov_b32_e32 v255, v67
	v_mov_b32_e32 v254, v66
	v_add_f64 v[46:47], v[240:241], v[46:47]
	v_mov_b32_e32 v241, v53
	v_mov_b32_e32 v240, v52
	v_mul_f64 v[52:53], v[82:83], s[44:45]
	v_add_f64 v[44:45], v[242:243], v[44:45]
	v_mov_b32_e32 v243, v55
	v_add_f64 v[50:51], v[210:211], v[50:51]
	v_mov_b32_e32 v242, v54
	v_add_f64 v[48:49], v[210:211], v[48:49]
	v_add_f64 v[46:47], v[232:233], v[46:47]
	v_fma_f64 v[54:55], v[74:75], s[2:3], v[52:53]
	v_fma_f64 v[52:53], v[74:75], s[2:3], -v[52:53]
	v_add_f64 v[44:45], v[234:235], v[44:45]
	v_add_f64 v[46:47], v[224:225], v[46:47]
	;; [unrolled: 1-line block ×3, first 2 shown]
	v_mul_f64 v[54:55], v[38:39], s[42:43]
	v_add_f64 v[48:49], v[52:53], v[48:49]
	v_add_f64 v[44:45], v[226:227], v[44:45]
	;; [unrolled: 1-line block ×3, first 2 shown]
	v_fma_f64 v[56:57], v[36:37], s[40:41], -v[54:55]
	v_fma_f64 v[52:53], v[36:37], s[40:41], v[54:55]
	v_fma_f64 v[54:55], v[4:5], s[2:3], v[58:59]
	v_mul_f64 v[58:59], v[6:7], s[48:49]
	v_add_f64 v[44:45], v[230:231], v[44:45]
	v_add_f64 v[56:57], v[208:209], v[56:57]
	;; [unrolled: 1-line block ×4, first 2 shown]
	v_mul_f64 v[60:61], v[90:91], s[36:37]
	v_add_f64 v[52:53], v[54:55], v[52:53]
	v_fma_f64 v[62:63], v[86:87], s[26:27], v[60:61]
	v_fma_f64 v[54:55], v[86:87], s[26:27], -v[60:61]
	v_fma_f64 v[60:61], v[4:5], s[16:17], -v[58:59]
	v_add_f64 v[50:51], v[62:63], v[50:51]
	v_mul_f64 v[62:63], v[0:1], s[36:37]
	v_add_f64 v[48:49], v[54:55], v[48:49]
	v_fma_f64 v[64:65], v[2:3], s[26:27], -v[62:63]
	v_fma_f64 v[54:55], v[2:3], s[26:27], v[62:63]
	v_add_f64 v[56:57], v[64:65], v[56:57]
	v_mul_f64 v[64:65], v[24:25], s[46:47]
	v_add_f64 v[52:53], v[54:55], v[52:53]
	v_fma_f64 v[66:67], v[16:17], s[10:11], v[64:65]
	v_fma_f64 v[54:55], v[16:17], s[10:11], -v[64:65]
	v_add_f64 v[50:51], v[66:67], v[50:51]
	v_mul_f64 v[66:67], v[80:81], s[46:47]
	v_add_f64 v[48:49], v[54:55], v[48:49]
	v_fma_f64 v[68:69], v[78:79], s[10:11], -v[66:67]
	v_fma_f64 v[54:55], v[78:79], s[10:11], v[66:67]
	v_add_f64 v[56:57], v[68:69], v[56:57]
	v_fma_f64 v[68:69], v[30:31], s[22:23], v[92:93]
	v_add_f64 v[52:53], v[54:55], v[52:53]
	v_fma_f64 v[54:55], v[30:31], s[22:23], -v[92:93]
	v_add_f64 v[50:51], v[68:69], v[50:51]
	v_fma_f64 v[68:69], v[8:9], s[22:23], -v[94:95]
	v_add_f64 v[48:49], v[54:55], v[48:49]
	v_fma_f64 v[54:55], v[8:9], s[22:23], v[94:95]
	v_add_f64 v[56:57], v[68:69], v[56:57]
	v_fma_f64 v[68:69], v[26:27], s[16:17], v[96:97]
	v_add_f64 v[52:53], v[54:55], v[52:53]
	v_fma_f64 v[54:55], v[26:27], s[16:17], -v[96:97]
	v_add_f64 v[50:51], v[68:69], v[50:51]
	v_fma_f64 v[68:69], v[12:13], s[16:17], -v[98:99]
	v_add_f64 v[48:49], v[54:55], v[48:49]
	;; [unrolled: 8-line block ×3, first 2 shown]
	v_fma_f64 v[54:55], v[88:89], s[30:31], v[102:103]
	v_add_f64 v[56:57], v[68:69], v[56:57]
	v_fma_f64 v[68:69], v[76:77], s[20:21], v[104:105]
	v_add_f64 v[52:53], v[54:55], v[52:53]
	v_fma_f64 v[54:55], v[76:77], s[20:21], -v[104:105]
	v_add_f64 v[70:71], v[68:69], v[50:51]
	v_mul_f64 v[50:51], v[84:85], s[52:53]
	v_add_f64 v[142:143], v[54:55], v[48:49]
	v_mul_f64 v[48:49], v[42:43], s[36:37]
	v_fma_f64 v[68:69], v[72:73], s[20:21], -v[50:51]
	v_fma_f64 v[50:51], v[72:73], s[20:21], v[50:51]
	v_add_f64 v[68:69], v[68:69], v[56:57]
	v_add_f64 v[140:141], v[50:51], v[52:53]
	v_fma_f64 v[50:51], v[40:41], s[26:27], v[48:49]
	v_mul_f64 v[52:53], v[82:83], s[48:49]
	v_fma_f64 v[48:49], v[40:41], s[26:27], -v[48:49]
	v_add_f64 v[50:51], v[210:211], v[50:51]
	v_fma_f64 v[54:55], v[74:75], s[16:17], v[52:53]
	v_fma_f64 v[52:53], v[74:75], s[16:17], -v[52:53]
	v_add_f64 v[48:49], v[210:211], v[48:49]
	v_add_f64 v[50:51], v[54:55], v[50:51]
	v_mul_f64 v[54:55], v[38:39], s[36:37]
	v_add_f64 v[48:49], v[52:53], v[48:49]
	v_fma_f64 v[56:57], v[36:37], s[26:27], -v[54:55]
	v_fma_f64 v[52:53], v[36:37], s[26:27], v[54:55]
	v_fma_f64 v[54:55], v[4:5], s[16:17], v[58:59]
	v_mul_f64 v[58:59], v[6:7], s[54:55]
	v_add_f64 v[56:57], v[208:209], v[56:57]
	v_add_f64 v[52:53], v[208:209], v[52:53]
	;; [unrolled: 1-line block ×3, first 2 shown]
	v_mul_f64 v[60:61], v[90:91], s[18:19]
	v_add_f64 v[52:53], v[54:55], v[52:53]
	v_fma_f64 v[62:63], v[86:87], s[20:21], v[60:61]
	v_fma_f64 v[54:55], v[86:87], s[20:21], -v[60:61]
	v_fma_f64 v[60:61], v[4:5], s[30:31], -v[58:59]
	v_add_f64 v[50:51], v[62:63], v[50:51]
	v_mul_f64 v[62:63], v[0:1], s[18:19]
	v_add_f64 v[48:49], v[54:55], v[48:49]
	v_fma_f64 v[64:65], v[2:3], s[20:21], -v[62:63]
	v_fma_f64 v[54:55], v[2:3], s[20:21], v[62:63]
	v_add_f64 v[56:57], v[64:65], v[56:57]
	v_mul_f64 v[64:65], v[24:25], s[50:51]
	v_add_f64 v[52:53], v[54:55], v[52:53]
	v_fma_f64 v[66:67], v[16:17], s[22:23], v[64:65]
	v_fma_f64 v[54:55], v[16:17], s[22:23], -v[64:65]
	v_add_f64 v[50:51], v[66:67], v[50:51]
	v_mul_f64 v[66:67], v[80:81], s[50:51]
	v_add_f64 v[48:49], v[54:55], v[48:49]
	v_fma_f64 v[92:93], v[78:79], s[22:23], -v[66:67]
	v_fma_f64 v[54:55], v[78:79], s[22:23], v[66:67]
	v_add_f64 v[56:57], v[92:93], v[56:57]
	v_mul_f64 v[92:93], v[32:33], s[8:9]
	v_add_f64 v[52:53], v[54:55], v[52:53]
	v_fma_f64 v[94:95], v[30:31], s[2:3], v[92:93]
	;; [unrolled: 10-line block ×5, first 2 shown]
	v_fma_f64 v[54:55], v[76:77], s[30:31], -v[104:105]
	v_add_f64 v[150:151], v[106:107], v[50:51]
	v_mul_f64 v[50:51], v[84:85], s[38:39]
	v_add_f64 v[166:167], v[54:55], v[48:49]
	v_mul_f64 v[48:49], v[42:43], s[24:25]
	v_fma_f64 v[106:107], v[72:73], s[30:31], -v[50:51]
	v_fma_f64 v[50:51], v[72:73], s[30:31], v[50:51]
	v_add_f64 v[148:149], v[106:107], v[56:57]
	v_add_f64 v[164:165], v[50:51], v[52:53]
	v_fma_f64 v[50:51], v[40:41], s[22:23], v[48:49]
	v_mul_f64 v[52:53], v[82:83], s[54:55]
	v_add_f64 v[50:51], v[210:211], v[50:51]
	v_fma_f64 v[54:55], v[74:75], s[30:31], v[52:53]
	v_add_f64 v[50:51], v[54:55], v[50:51]
	v_mul_f64 v[54:55], v[38:39], s[24:25]
	v_fma_f64 v[56:57], v[36:37], s[22:23], -v[54:55]
	v_add_f64 v[56:57], v[208:209], v[56:57]
	v_add_f64 v[56:57], v[60:61], v[56:57]
	v_mul_f64 v[60:61], v[90:91], s[8:9]
	v_fma_f64 v[62:63], v[86:87], s[2:3], v[60:61]
	v_add_f64 v[50:51], v[62:63], v[50:51]
	v_mul_f64 v[62:63], v[0:1], s[8:9]
	v_fma_f64 v[64:65], v[2:3], s[2:3], -v[62:63]
	v_add_f64 v[56:57], v[64:65], v[56:57]
	v_mul_f64 v[64:65], v[24:25], s[36:37]
	v_fma_f64 v[66:67], v[16:17], s[26:27], v[64:65]
	v_add_f64 v[50:51], v[66:67], v[50:51]
	v_mul_f64 v[66:67], v[80:81], s[36:37]
	v_fma_f64 v[92:93], v[78:79], s[26:27], -v[66:67]
	;; [unrolled: 6-line block ×6, first 2 shown]
	v_fma_f64 v[50:51], v[72:73], s[16:17], v[50:51]
	v_add_f64 v[180:181], v[106:107], v[56:57]
	v_add_f64 v[56:57], v[222:223], v[44:45]
	v_fma_f64 v[44:45], v[40:41], s[22:23], -v[48:49]
	v_add_f64 v[106:107], v[220:221], v[46:47]
	v_fma_f64 v[46:47], v[74:75], s[30:31], -v[52:53]
	v_fma_f64 v[48:49], v[4:5], s[30:31], v[58:59]
	v_mul_f64 v[52:53], v[42:43], s[38:39]
	v_add_f64 v[44:45], v[210:211], v[44:45]
	v_add_f64 v[44:45], v[46:47], v[44:45]
	v_fma_f64 v[46:47], v[36:37], s[22:23], v[54:55]
	v_fma_f64 v[54:55], v[40:41], s[30:31], v[52:53]
	v_fma_f64 v[52:53], v[40:41], s[30:31], -v[52:53]
	v_add_f64 v[46:47], v[208:209], v[46:47]
	v_add_f64 v[54:55], v[210:211], v[54:55]
	;; [unrolled: 1-line block ×4, first 2 shown]
	v_fma_f64 v[48:49], v[86:87], s[2:3], -v[60:61]
	v_mul_f64 v[60:61], v[42:43], s[34:35]
	v_add_f64 v[44:45], v[48:49], v[44:45]
	v_fma_f64 v[48:49], v[2:3], s[2:3], v[62:63]
	v_fma_f64 v[62:63], v[40:41], s[16:17], v[60:61]
	v_fma_f64 v[60:61], v[40:41], s[16:17], -v[60:61]
	v_add_f64 v[46:47], v[48:49], v[46:47]
	v_fma_f64 v[48:49], v[16:17], s[26:27], -v[64:65]
	v_mul_f64 v[64:65], v[42:43], s[28:29]
	v_add_f64 v[62:63], v[210:211], v[62:63]
	v_add_f64 v[60:61], v[210:211], v[60:61]
	;; [unrolled: 1-line block ×3, first 2 shown]
	v_fma_f64 v[48:49], v[78:79], s[26:27], v[66:67]
	v_fma_f64 v[66:67], v[40:41], s[10:11], v[64:65]
	v_add_f64 v[46:47], v[48:49], v[46:47]
	v_fma_f64 v[48:49], v[30:31], s[20:21], -v[92:93]
	v_mul_f64 v[92:93], v[38:39], s[18:19]
	v_add_f64 v[66:67], v[210:211], v[66:67]
	v_add_f64 v[44:45], v[48:49], v[44:45]
	v_fma_f64 v[48:49], v[8:9], s[20:21], v[94:95]
	v_mul_f64 v[94:95], v[38:39], s[34:35]
	v_add_f64 v[46:47], v[48:49], v[46:47]
	v_fma_f64 v[48:49], v[26:27], s[10:11], -v[96:97]
	v_add_f64 v[44:45], v[48:49], v[44:45]
	v_fma_f64 v[48:49], v[12:13], s[10:11], v[98:99]
	v_fma_f64 v[98:99], v[36:37], s[20:21], -v[92:93]
	v_fma_f64 v[92:93], v[36:37], s[20:21], v[92:93]
	v_add_f64 v[46:47], v[48:49], v[46:47]
	v_fma_f64 v[48:49], v[18:19], s[40:41], -v[100:101]
	v_fma_f64 v[100:101], v[36:37], s[16:17], -v[94:95]
	v_fma_f64 v[94:95], v[36:37], s[16:17], v[94:95]
	v_add_f64 v[98:99], v[208:209], v[98:99]
	v_add_f64 v[92:93], v[208:209], v[92:93]
	;; [unrolled: 1-line block ×3, first 2 shown]
	v_fma_f64 v[48:49], v[88:89], s[40:41], v[102:103]
	v_add_f64 v[100:101], v[208:209], v[100:101]
	v_add_f64 v[94:95], v[208:209], v[94:95]
	;; [unrolled: 1-line block ×3, first 2 shown]
	v_fma_f64 v[46:47], v[76:77], s[16:17], -v[104:105]
	v_mul_f64 v[104:105], v[82:83], s[56:57]
	v_add_f64 v[46:47], v[46:47], v[44:45]
	v_add_f64 v[44:45], v[50:51], v[48:49]
	;; [unrolled: 1-line block ×3, first 2 shown]
	v_mul_f64 v[56:57], v[42:43], s[18:19]
	v_add_f64 v[50:51], v[216:217], v[106:107]
	v_fma_f64 v[106:107], v[74:75], s[26:27], v[104:105]
	v_mul_f64 v[42:43], v[42:43], s[8:9]
	v_fma_f64 v[104:105], v[74:75], s[26:27], -v[104:105]
	v_add_f64 v[48:49], v[214:215], v[48:49]
	v_fma_f64 v[58:59], v[40:41], s[20:21], -v[56:57]
	v_fma_f64 v[56:57], v[40:41], s[20:21], v[56:57]
	v_fma_f64 v[40:41], v[40:41], s[10:11], -v[64:65]
	v_mul_f64 v[64:65], v[38:39], s[38:39]
	v_mul_f64 v[38:39], v[38:39], s[28:29]
	v_add_f64 v[54:55], v[106:107], v[54:55]
	v_mul_f64 v[106:107], v[90:91], s[46:47]
	v_add_f64 v[42:43], v[110:111], -v[42:43]
	v_mov_b32_e32 v217, v115
	v_mov_b32_e32 v216, v114
	v_mov_b32_e32 v215, v113
	v_mov_b32_e32 v214, v112
	v_add_f64 v[52:53], v[104:105], v[52:53]
	v_mul_f64 v[104:105], v[32:33], s[42:43]
	v_add_f64 v[50:51], v[212:213], v[50:51]
	v_add_f64 v[58:59], v[210:211], v[58:59]
	;; [unrolled: 1-line block ×4, first 2 shown]
	v_fma_f64 v[96:97], v[36:37], s[30:31], -v[64:65]
	v_fma_f64 v[64:65], v[36:37], s[30:31], v[64:65]
	v_fma_f64 v[102:103], v[36:37], s[10:11], -v[38:39]
	v_fma_f64 v[38:39], v[36:37], s[10:11], v[38:39]
	v_mul_f64 v[36:37], v[36:37], s[2:3]
	v_add_f64 v[42:43], v[210:211], v[42:43]
	v_add_f64 v[96:97], v[208:209], v[96:97]
	;; [unrolled: 1-line block ×6, first 2 shown]
	v_fma_f64 v[108:109], v[86:87], s[10:11], v[106:107]
	v_fma_f64 v[106:107], v[86:87], s[10:11], -v[106:107]
	v_add_f64 v[36:37], v[208:209], v[36:37]
	v_add_f64 v[54:55], v[108:109], v[54:55]
	v_mul_f64 v[108:109], v[24:25], s[34:35]
	v_add_f64 v[52:53], v[106:107], v[52:53]
	v_mul_f64 v[106:107], v[34:35], s[52:53]
	v_fma_f64 v[110:111], v[16:17], s[16:17], v[108:109]
	v_fma_f64 v[108:109], v[16:17], s[16:17], -v[108:109]
	v_add_f64 v[54:55], v[110:111], v[54:55]
	v_mul_f64 v[110:111], v[6:7], s[56:57]
	v_add_f64 v[52:53], v[108:109], v[52:53]
	v_mul_f64 v[108:109], v[6:7], s[42:43]
	v_fma_f64 v[112:113], v[4:5], s[26:27], -v[110:111]
	v_fma_f64 v[110:111], v[4:5], s[26:27], v[110:111]
	v_add_f64 v[96:97], v[112:113], v[96:97]
	v_fma_f64 v[112:113], v[30:31], s[40:41], v[104:105]
	v_add_f64 v[64:65], v[110:111], v[64:65]
	v_fma_f64 v[110:111], v[26:27], s[20:21], v[106:107]
	v_fma_f64 v[104:105], v[30:31], s[40:41], -v[104:105]
	v_add_f64 v[54:55], v[112:113], v[54:55]
	v_mul_f64 v[112:113], v[0:1], s[46:47]
	v_add_f64 v[52:53], v[104:105], v[52:53]
	v_mul_f64 v[104:105], v[0:1], s[54:55]
	v_add_f64 v[54:55], v[110:111], v[54:55]
	v_fma_f64 v[114:115], v[2:3], s[10:11], -v[112:113]
	v_mul_f64 v[110:111], v[82:83], s[42:43]
	v_fma_f64 v[112:113], v[2:3], s[10:11], v[112:113]
	v_add_f64 v[96:97], v[114:115], v[96:97]
	v_fma_f64 v[114:115], v[74:75], s[40:41], -v[110:111]
	v_fma_f64 v[110:111], v[74:75], s[40:41], v[110:111]
	v_add_f64 v[64:65], v[112:113], v[64:65]
	v_add_f64 v[58:59], v[114:115], v[58:59]
	v_add_f64 v[56:57], v[110:111], v[56:57]
	v_fma_f64 v[110:111], v[4:5], s[40:41], -v[108:109]
	v_mul_f64 v[114:115], v[80:81], s[34:35]
	v_fma_f64 v[108:109], v[4:5], s[40:41], v[108:109]
	v_add_f64 v[98:99], v[110:111], v[98:99]
	v_mul_f64 v[110:111], v[28:29], s[8:9]
	v_fma_f64 v[208:209], v[78:79], s[16:17], -v[114:115]
	v_add_f64 v[92:93], v[108:109], v[92:93]
	v_mul_f64 v[108:109], v[24:25], s[44:45]
	v_fma_f64 v[114:115], v[78:79], s[16:17], v[114:115]
	v_fma_f64 v[112:113], v[18:19], s[2:3], v[110:111]
	v_add_f64 v[96:97], v[208:209], v[96:97]
	v_fma_f64 v[110:111], v[18:19], s[2:3], -v[110:111]
	v_add_f64 v[64:65], v[114:115], v[64:65]
	v_add_f64 v[54:55], v[112:113], v[54:55]
	v_mul_f64 v[112:113], v[90:91], s[54:55]
	v_fma_f64 v[208:209], v[86:87], s[30:31], -v[112:113]
	v_fma_f64 v[112:113], v[86:87], s[30:31], v[112:113]
	v_add_f64 v[58:59], v[208:209], v[58:59]
	v_add_f64 v[56:57], v[112:113], v[56:57]
	v_fma_f64 v[112:113], v[2:3], s[30:31], -v[104:105]
	v_mul_f64 v[208:209], v[10:11], s[42:43]
	v_fma_f64 v[104:105], v[2:3], s[30:31], v[104:105]
	v_add_f64 v[98:99], v[112:113], v[98:99]
	v_fma_f64 v[112:113], v[16:17], s[2:3], -v[108:109]
	v_fma_f64 v[108:109], v[16:17], s[2:3], v[108:109]
	v_fma_f64 v[210:211], v[8:9], s[40:41], -v[208:209]
	v_add_f64 v[92:93], v[104:105], v[92:93]
	v_fma_f64 v[104:105], v[26:27], s[20:21], -v[106:107]
	v_add_f64 v[58:59], v[112:113], v[58:59]
	v_fma_f64 v[112:113], v[8:9], s[40:41], v[208:209]
	v_add_f64 v[56:57], v[108:109], v[56:57]
	v_mul_f64 v[108:109], v[22:23], s[52:53]
	v_add_f64 v[96:97], v[210:211], v[96:97]
	v_add_f64 v[52:53], v[104:105], v[52:53]
	v_mul_f64 v[104:105], v[32:33], s[34:35]
	s_mov_b32 s53, 0x3fc7851a
	s_mov_b32 s52, s42
	v_add_f64 v[64:65], v[112:113], v[64:65]
	v_fma_f64 v[112:113], v[12:13], s[20:21], -v[108:109]
	v_fma_f64 v[108:109], v[12:13], s[20:21], v[108:109]
	v_add_f64 v[52:53], v[110:111], v[52:53]
	v_fma_f64 v[106:107], v[30:31], s[16:17], -v[104:105]
	v_fma_f64 v[104:105], v[30:31], s[16:17], v[104:105]
	v_add_f64 v[96:97], v[112:113], v[96:97]
	v_mul_f64 v[112:113], v[80:81], s[44:45]
	v_add_f64 v[64:65], v[108:109], v[64:65]
	v_add_f64 v[58:59], v[106:107], v[58:59]
	;; [unrolled: 1-line block ×3, first 2 shown]
	v_mul_f64 v[104:105], v[10:11], s[34:35]
	v_mul_f64 v[106:107], v[82:83], s[24:25]
	v_fma_f64 v[114:115], v[78:79], s[2:3], -v[112:113]
	v_fma_f64 v[108:109], v[8:9], s[16:17], -v[104:105]
	v_fma_f64 v[104:105], v[8:9], s[16:17], v[104:105]
	v_add_f64 v[98:99], v[114:115], v[98:99]
	v_fma_f64 v[114:115], v[74:75], s[22:23], v[106:107]
	v_fma_f64 v[106:107], v[74:75], s[22:23], -v[106:107]
	v_add_f64 v[98:99], v[108:109], v[98:99]
	v_fma_f64 v[108:109], v[78:79], s[2:3], v[112:113]
	v_add_f64 v[62:63], v[114:115], v[62:63]
	v_add_f64 v[60:61], v[106:107], v[60:61]
	v_add_f64 v[92:93], v[108:109], v[92:93]
	v_mul_f64 v[108:109], v[20:21], s[8:9]
	v_add_f64 v[92:93], v[104:105], v[92:93]
	v_fma_f64 v[112:113], v[88:89], s[2:3], -v[108:109]
	v_fma_f64 v[108:109], v[88:89], s[2:3], v[108:109]
	v_mul_f64 v[104:105], v[28:29], s[50:51]
	v_add_f64 v[96:97], v[112:113], v[96:97]
	v_mul_f64 v[112:113], v[34:35], s[36:37]
	v_add_f64 v[64:65], v[108:109], v[64:65]
	v_fma_f64 v[108:109], v[26:27], s[26:27], v[112:113]
	v_fma_f64 v[114:115], v[26:27], s[26:27], -v[112:113]
	v_add_f64 v[56:57], v[108:109], v[56:57]
	v_mul_f64 v[108:109], v[22:23], s[36:37]
	v_add_f64 v[58:59], v[114:115], v[58:59]
	v_mul_f64 v[114:115], v[90:91], s[52:53]
	v_fma_f64 v[110:111], v[12:13], s[26:27], -v[108:109]
	v_fma_f64 v[108:109], v[12:13], s[26:27], v[108:109]
	v_fma_f64 v[208:209], v[86:87], s[40:41], v[114:115]
	v_add_f64 v[98:99], v[110:111], v[98:99]
	v_fma_f64 v[110:111], v[18:19], s[22:23], -v[104:105]
	v_add_f64 v[62:63], v[208:209], v[62:63]
	v_add_f64 v[92:93], v[108:109], v[92:93]
	v_mul_f64 v[108:109], v[32:33], s[46:47]
	v_mul_f64 v[208:209], v[4:5], s[10:11]
	v_add_f64 v[58:59], v[110:111], v[58:59]
	v_mul_f64 v[110:111], v[24:25], s[54:55]
	v_add_f64 v[208:209], v[208:209], v[137:138]
	v_fma_f64 v[112:113], v[16:17], s[30:31], v[110:111]
	v_add_f64 v[36:37], v[208:209], v[36:37]
	v_add_f64 v[62:63], v[112:113], v[62:63]
	v_fma_f64 v[112:113], v[30:31], s[10:11], v[108:109]
	v_add_f64 v[62:63], v[112:113], v[62:63]
	v_mul_f64 v[112:113], v[82:83], s[28:29]
	v_mul_f64 v[82:83], v[82:83], s[18:19]
	v_add_f64 v[112:113], v[240:241], -v[112:113]
	v_fma_f64 v[106:107], v[74:75], s[20:21], -v[82:83]
	v_fma_f64 v[74:75], v[74:75], s[20:21], v[82:83]
	v_mul_f64 v[82:83], v[6:7], s[24:25]
	v_mul_f64 v[6:7], v[6:7], s[18:19]
	v_add_f64 v[42:43], v[112:113], v[42:43]
	v_add_f64 v[66:67], v[74:75], v[66:67]
	v_fma_f64 v[210:211], v[4:5], s[22:23], v[82:83]
	v_fma_f64 v[82:83], v[4:5], s[22:23], -v[82:83]
	v_fma_f64 v[212:213], v[4:5], s[20:21], v[6:7]
	v_fma_f64 v[4:5], v[4:5], s[20:21], -v[6:7]
	v_add_f64 v[6:7], v[106:107], v[40:41]
	v_mul_f64 v[40:41], v[90:91], s[34:35]
	v_mul_f64 v[90:91], v[90:91], s[24:25]
	;; [unrolled: 1-line block ×5, first 2 shown]
	v_add_f64 v[94:95], v[210:211], v[94:95]
	v_add_f64 v[82:83], v[82:83], v[100:101]
	v_fma_f64 v[100:101], v[86:87], s[40:41], -v[114:115]
	v_add_f64 v[38:39], v[212:213], v[38:39]
	v_add_f64 v[40:41], v[254:255], -v[40:41]
	v_fma_f64 v[112:113], v[2:3], s[22:23], v[0:1]
	v_fma_f64 v[0:1], v[2:3], s[22:23], -v[0:1]
	v_add_f64 v[106:107], v[106:107], v[236:237]
	v_add_f64 v[60:61], v[100:101], v[60:61]
	v_fma_f64 v[100:101], v[86:87], s[22:23], -v[90:91]
	v_fma_f64 v[86:87], v[86:87], s[22:23], v[90:91]
	v_fma_f64 v[90:91], v[2:3], s[40:41], v[74:75]
	v_fma_f64 v[74:75], v[2:3], s[40:41], -v[74:75]
	v_add_f64 v[2:3], v[4:5], v[102:103]
	v_add_f64 v[40:41], v[40:41], v[42:43]
	v_mul_f64 v[42:43], v[78:79], s[20:21]
	v_add_f64 v[36:37], v[106:107], v[36:37]
	v_add_f64 v[38:39], v[112:113], v[38:39]
	v_mov_b32_e32 v112, v214
	v_mov_b32_e32 v113, v215
	;; [unrolled: 1-line block ×4, first 2 shown]
	v_add_f64 v[4:5], v[100:101], v[6:7]
	v_mul_f64 v[6:7], v[24:25], s[18:19]
	v_mul_f64 v[24:25], v[24:25], s[42:43]
	v_add_f64 v[74:75], v[74:75], v[82:83]
	v_fma_f64 v[82:83], v[16:17], s[30:31], -v[110:111]
	v_add_f64 v[90:91], v[90:91], v[94:95]
	v_add_f64 v[42:43], v[42:43], v[246:247]
	;; [unrolled: 1-line block ×3, first 2 shown]
	v_add_f64 v[6:7], v[248:249], -v[6:7]
	v_add_f64 v[60:61], v[82:83], v[60:61]
	v_fma_f64 v[82:83], v[16:17], s[40:41], -v[24:25]
	v_fma_f64 v[16:17], v[16:17], s[40:41], v[24:25]
	v_add_f64 v[24:25], v[86:87], v[66:67]
	v_mul_f64 v[66:67], v[80:81], s[54:55]
	v_add_f64 v[36:37], v[42:43], v[36:37]
	v_mul_f64 v[80:81], v[80:81], s[42:43]
	;; [unrolled: 2-line block ×4, first 2 shown]
	v_mul_f64 v[32:33], v[32:33], s[56:57]
	v_fma_f64 v[86:87], v[78:79], s[30:31], v[66:67]
	v_fma_f64 v[66:67], v[78:79], s[30:31], -v[66:67]
	v_add_f64 v[16:17], v[16:17], v[24:25]
	v_mul_f64 v[24:25], v[10:11], s[46:47]
	v_mul_f64 v[10:11], v[10:11], s[56:57]
	v_fma_f64 v[94:95], v[78:79], s[40:41], v[80:81]
	v_fma_f64 v[78:79], v[78:79], s[40:41], -v[80:81]
	v_mul_f64 v[82:83], v[14:15], s[46:47]
	v_add_f64 v[40:41], v[40:41], v[244:245]
	v_add_f64 v[4:5], v[135:136], -v[4:5]
	v_add_f64 v[42:43], v[86:87], v[90:91]
	v_add_f64 v[66:67], v[66:67], v[74:75]
	v_fma_f64 v[74:75], v[30:31], s[10:11], -v[108:109]
	v_mul_f64 v[86:87], v[84:85], s[46:47]
	v_fma_f64 v[80:81], v[8:9], s[26:27], v[10:11]
	v_add_f64 v[38:39], v[94:95], v[38:39]
	v_add_f64 v[0:1], v[78:79], v[0:1]
	v_mul_f64 v[78:79], v[20:21], s[50:51]
	v_add_f64 v[36:37], v[40:41], v[36:37]
	v_mul_f64 v[40:41], v[34:35], s[8:9]
	v_add_f64 v[4:5], v[4:5], v[6:7]
	v_mul_f64 v[6:7], v[12:13], s[22:23]
	v_add_f64 v[60:61], v[74:75], v[60:61]
	v_fma_f64 v[74:75], v[30:31], s[26:27], -v[32:33]
	v_fma_f64 v[30:31], v[30:31], s[26:27], v[32:33]
	v_fma_f64 v[32:33], v[8:9], s[10:11], v[24:25]
	v_fma_f64 v[24:25], v[8:9], s[10:11], -v[24:25]
	v_fma_f64 v[8:9], v[8:9], s[26:27], -v[10:11]
	v_mul_f64 v[10:11], v[34:35], s[24:25]
	v_mul_f64 v[34:35], v[34:35], s[54:55]
	v_add_f64 v[38:39], v[80:81], v[38:39]
	v_add_f64 v[6:7], v[6:7], v[252:253]
	;; [unrolled: 1-line block ×3, first 2 shown]
	v_fma_f64 v[74:75], v[26:27], s[2:3], -v[40:41]
	v_add_f64 v[32:33], v[32:33], v[42:43]
	v_mul_f64 v[42:43], v[22:23], s[8:9]
	v_mul_f64 v[22:23], v[22:23], s[54:55]
	v_add_f64 v[10:11], v[238:239], -v[10:11]
	v_add_f64 v[24:25], v[24:25], v[66:67]
	v_fma_f64 v[40:41], v[26:27], s[2:3], v[40:41]
	v_fma_f64 v[66:67], v[26:27], s[30:31], -v[34:35]
	v_fma_f64 v[26:27], v[26:27], s[30:31], v[34:35]
	v_add_f64 v[16:17], v[30:31], v[16:17]
	v_add_f64 v[0:1], v[8:9], v[0:1]
	v_mul_f64 v[8:9], v[88:89], s[26:27]
	v_add_f64 v[6:7], v[6:7], v[36:37]
	v_add_f64 v[60:61], v[74:75], v[60:61]
	v_mul_f64 v[74:75], v[28:29], s[18:19]
	v_fma_f64 v[30:31], v[12:13], s[2:3], v[42:43]
	v_fma_f64 v[34:35], v[12:13], s[2:3], -v[42:43]
	v_fma_f64 v[42:43], v[12:13], s[30:31], v[22:23]
	v_fma_f64 v[12:13], v[12:13], s[30:31], -v[22:23]
	v_mul_f64 v[22:23], v[28:29], s[36:37]
	v_mul_f64 v[28:29], v[28:29], s[48:49]
	v_add_f64 v[2:3], v[66:67], v[2:3]
	v_add_f64 v[4:5], v[10:11], v[4:5]
	v_mul_f64 v[10:11], v[20:21], s[18:19]
	v_mul_f64 v[20:21], v[20:21], s[48:49]
	v_add_f64 v[16:17], v[26:27], v[16:17]
	v_mul_f64 v[26:27], v[14:15], s[36:37]
	v_add_f64 v[8:9], v[8:9], v[242:243]
	v_fma_f64 v[66:67], v[18:19], s[20:21], -v[74:75]
	v_add_f64 v[30:31], v[30:31], v[32:33]
	v_fma_f64 v[74:75], v[18:19], s[20:21], v[74:75]
	v_add_f64 v[36:37], v[42:43], v[38:39]
	v_add_f64 v[38:39], v[40:41], v[62:63]
	v_add_f64 v[22:23], v[250:251], -v[22:23]
	v_fma_f64 v[32:33], v[18:19], s[16:17], -v[28:29]
	v_fma_f64 v[42:43], v[18:19], s[22:23], v[104:105]
	v_fma_f64 v[62:63], v[88:89], s[22:23], -v[78:79]
	v_fma_f64 v[18:19], v[18:19], s[16:17], v[28:29]
	v_fma_f64 v[28:29], v[88:89], s[20:21], v[10:11]
	;; [unrolled: 1-line block ×3, first 2 shown]
	v_fma_f64 v[10:11], v[88:89], s[20:21], -v[10:11]
	v_fma_f64 v[20:21], v[88:89], s[16:17], -v[20:21]
	v_mul_f64 v[40:41], v[14:15], s[42:43]
	v_add_f64 v[24:25], v[34:35], v[24:25]
	v_mul_f64 v[34:35], v[72:73], s[40:41]
	v_add_f64 v[8:9], v[8:9], v[6:7]
	v_add_f64 v[0:1], v[12:13], v[0:1]
	v_mul_f64 v[12:13], v[84:85], s[44:45]
	v_add_f64 v[60:61], v[66:67], v[60:61]
	v_fma_f64 v[66:67], v[88:89], s[22:23], v[78:79]
	s_clause 0x1
	buffer_load_dword v88, off, s[60:63], 0 offset:632
	buffer_load_dword v89, off, s[60:63], 0 offset:636
	v_mul_f64 v[78:79], v[14:15], s[24:25]
	v_mul_f64 v[14:15], v[14:15], s[44:45]
	v_add_f64 v[4:5], v[22:23], v[4:5]
	s_clause 0x1
	buffer_load_dword v22, off, s[60:63], 0 offset:640
	buffer_load_dword v23, off, s[60:63], 0 offset:644
	v_add_f64 v[32:33], v[32:33], v[2:3]
	v_mul_f64 v[2:3], v[84:85], s[36:37]
	v_mul_f64 v[84:85], v[84:85], s[24:25]
	v_add_f64 v[28:29], v[28:29], v[30:31]
	v_add_f64 v[36:37], v[80:81], v[36:37]
	v_fma_f64 v[30:31], v[76:77], s[26:27], -v[26:27]
	v_add_f64 v[38:39], v[74:75], v[38:39]
	v_add_f64 v[42:43], v[42:43], v[56:57]
	v_fma_f64 v[56:57], v[72:73], s[10:11], v[86:87]
	v_add_f64 v[90:91], v[10:11], v[24:25]
	v_add_f64 v[62:63], v[62:63], v[98:99]
	v_fma_f64 v[86:87], v[72:73], s[10:11], -v[86:87]
	v_add_f64 v[98:99], v[18:19], v[16:17]
	v_add_f64 v[100:101], v[20:21], v[0:1]
	;; [unrolled: 1-line block ×4, first 2 shown]
	v_fma_f64 v[92:93], v[76:77], s[26:27], v[26:27]
	v_fma_f64 v[6:7], v[76:77], s[22:23], -v[78:79]
	v_fma_f64 v[80:81], v[76:77], s[2:3], -v[14:15]
	v_fma_f64 v[78:79], v[76:77], s[22:23], v[78:79]
	v_fma_f64 v[74:75], v[72:73], s[26:27], v[2:3]
	;; [unrolled: 1-line block ×3, first 2 shown]
	v_fma_f64 v[84:85], v[72:73], s[22:23], -v[84:85]
	v_fma_f64 v[94:95], v[72:73], s[26:27], -v[2:3]
	v_add_f64 v[10:11], v[30:31], v[60:61]
	v_add_f64 v[2:3], v[6:7], v[52:53]
	;; [unrolled: 1-line block ×5, first 2 shown]
	s_waitcnt vmcnt(2)
	v_add_f64 v[40:41], v[88:89], -v[40:41]
	v_fma_f64 v[88:89], v[72:73], s[2:3], v[12:13]
	v_fma_f64 v[72:73], v[72:73], s[2:3], -v[12:13]
	s_waitcnt vmcnt(0)
	v_add_f64 v[34:35], v[34:35], v[22:23]
	v_fma_f64 v[22:23], v[76:77], s[10:11], -v[82:83]
	v_fma_f64 v[82:83], v[76:77], s[10:11], v[82:83]
	v_fma_f64 v[76:77], v[76:77], s[2:3], v[14:15]
	v_add_f64 v[14:15], v[80:81], v[32:33]
	buffer_load_dword v32, off, s[60:63], 0 offset:8 ; 4-byte Folded Reload
	v_add_f64 v[18:19], v[40:41], v[4:5]
	v_add_f64 v[12:13], v[88:89], v[36:37]
	;; [unrolled: 1-line block ×3, first 2 shown]
	v_mov_b32_e32 v41, 4
	v_add_f64 v[16:17], v[34:35], v[8:9]
	v_add_f64 v[6:7], v[22:23], v[58:59]
	;; [unrolled: 1-line block ×9, first 2 shown]
	s_waitcnt vmcnt(0)
	v_mul_lo_u16 v40, v32, 17
	v_add_f64 v[32:33], v[94:95], v[90:91]
	v_lshlrev_b32_sdwa v40, v41, v40 dst_sel:DWORD dst_unused:UNUSED_PAD src0_sel:DWORD src1_sel:WORD_0
	ds_write_b128 v40, v[20:23]
	ds_write_b128 v40, v[16:19] offset:16
	ds_write_b128 v40, v[12:15] offset:32
	;; [unrolled: 1-line block ×16, first 2 shown]
.LBB0_17:
	s_or_b32 exec_lo, exec_lo, s1
	s_waitcnt lgkmcnt(0)
	s_waitcnt_vscnt null, 0x0
	s_barrier
	buffer_gl0_inv
	ds_read_b128 v[0:3], v116 offset:15232
	ds_read_b128 v[4:7], v116 offset:17136
	;; [unrolled: 1-line block ×3, first 2 shown]
	s_clause 0x3
	buffer_load_dword v42, off, s[60:63], 0 offset:60
	buffer_load_dword v43, off, s[60:63], 0 offset:64
	buffer_load_dword v44, off, s[60:63], 0 offset:68
	buffer_load_dword v45, off, s[60:63], 0 offset:72
	ds_read_b128 v[12:15], v116 offset:20944
	s_clause 0x3
	buffer_load_dword v48, off, s[60:63], 0 offset:44
	buffer_load_dword v49, off, s[60:63], 0 offset:48
	;; [unrolled: 1-line block ×4, first 2 shown]
	ds_read_b128 v[16:19], v116 offset:22848
	ds_read_b128 v[20:23], v116 offset:24752
	s_clause 0x3
	buffer_load_dword v56, off, s[60:63], 0 offset:156
	buffer_load_dword v57, off, s[60:63], 0 offset:160
	;; [unrolled: 1-line block ×4, first 2 shown]
	ds_read_b128 v[24:27], v116 offset:26656
	s_waitcnt vmcnt(8) lgkmcnt(6)
	v_mul_f64 v[28:29], v[44:45], v[2:3]
	v_mul_f64 v[30:31], v[44:45], v[0:1]
	s_waitcnt vmcnt(4) lgkmcnt(5)
	v_mul_f64 v[32:33], v[50:51], v[6:7]
	v_mul_f64 v[34:35], v[50:51], v[4:5]
	;; [unrolled: 3-line block ×3, first 2 shown]
	v_fma_f64 v[40:41], v[42:43], v[0:1], v[28:29]
	v_fma_f64 v[42:43], v[42:43], v[2:3], -v[30:31]
	ds_read_b128 v[0:3], v116 offset:28560
	s_clause 0x13
	buffer_load_dword v62, off, s[60:63], 0 offset:140
	buffer_load_dword v63, off, s[60:63], 0 offset:144
	;; [unrolled: 1-line block ×20, first 2 shown]
	v_fma_f64 v[46:47], v[48:49], v[4:5], v[32:33]
	v_fma_f64 v[48:49], v[48:49], v[6:7], -v[34:35]
	v_fma_f64 v[54:55], v[56:57], v[8:9], v[36:37]
	v_fma_f64 v[56:57], v[56:57], v[10:11], -v[38:39]
	ds_read_b128 v[4:7], v116
	ds_read_b128 v[8:11], v116 offset:1904
	s_waitcnt vmcnt(16) lgkmcnt(6)
	v_mul_f64 v[28:29], v[64:65], v[14:15]
	s_waitcnt vmcnt(12) lgkmcnt(5)
	v_mul_f64 v[44:45], v[68:69], v[18:19]
	v_mul_f64 v[30:31], v[64:65], v[12:13]
	;; [unrolled: 1-line block ×3, first 2 shown]
	s_waitcnt vmcnt(8) lgkmcnt(4)
	v_mul_f64 v[34:35], v[72:73], v[22:23]
	v_mul_f64 v[50:51], v[72:73], v[20:21]
	s_waitcnt vmcnt(4) lgkmcnt(3)
	v_mul_f64 v[52:53], v[76:77], v[26:27]
	v_mul_f64 v[36:37], v[76:77], v[24:25]
	;; [unrolled: 3-line block ×3, first 2 shown]
	v_fma_f64 v[60:61], v[62:63], v[12:13], v[28:29]
	v_fma_f64 v[64:65], v[66:67], v[16:17], v[44:45]
	v_fma_f64 v[62:63], v[62:63], v[14:15], -v[30:31]
	v_fma_f64 v[66:67], v[66:67], v[18:19], -v[32:33]
	ds_read_b128 v[12:15], v116 offset:3808
	ds_read_b128 v[16:19], v116 offset:5712
	v_fma_f64 v[68:69], v[70:71], v[20:21], v[34:35]
	v_fma_f64 v[70:71], v[70:71], v[22:23], -v[50:51]
	ds_read_b128 v[20:23], v116 offset:7616
	ds_read_b128 v[28:31], v116 offset:9520
	v_fma_f64 v[72:73], v[74:75], v[24:25], v[52:53]
	v_fma_f64 v[74:75], v[74:75], v[26:27], -v[36:37]
	v_fma_f64 v[76:77], v[78:79], v[0:1], v[38:39]
	ds_read_b128 v[24:27], v116 offset:11424
	v_fma_f64 v[78:79], v[78:79], v[2:3], -v[58:59]
	ds_read_b128 v[0:3], v116 offset:13328
	s_waitcnt lgkmcnt(6)
	v_add_f64 v[38:39], v[10:11], -v[48:49]
	s_waitcnt lgkmcnt(0)
	s_barrier
	buffer_gl0_inv
	v_add_f64 v[32:33], v[4:5], -v[40:41]
	v_add_f64 v[34:35], v[6:7], -v[42:43]
	v_add_f64 v[36:37], v[8:9], -v[46:47]
	v_add_f64 v[40:41], v[12:13], -v[54:55]
	v_add_f64 v[42:43], v[14:15], -v[56:57]
	v_add_f64 v[44:45], v[16:17], -v[60:61]
	v_add_f64 v[48:49], v[20:21], -v[64:65]
	buffer_load_dword v64, off, s[60:63], 0 offset:360 ; 4-byte Folded Reload
	v_add_f64 v[46:47], v[18:19], -v[62:63]
	v_add_f64 v[50:51], v[22:23], -v[66:67]
	;; [unrolled: 1-line block ×8, first 2 shown]
	v_fma_f64 v[10:11], v[10:11], 2.0, -v[38:39]
	v_fma_f64 v[4:5], v[4:5], 2.0, -v[32:33]
	v_fma_f64 v[6:7], v[6:7], 2.0, -v[34:35]
	v_fma_f64 v[8:9], v[8:9], 2.0, -v[36:37]
	s_waitcnt vmcnt(0)
	ds_write_b128 v64, v[32:35] offset:272
	ds_write_b128 v64, v[4:7]
	buffer_load_dword v4, off, s[60:63], 0 offset:364 ; 4-byte Folded Reload
	v_fma_f64 v[12:13], v[12:13], 2.0, -v[40:41]
	v_fma_f64 v[14:15], v[14:15], 2.0, -v[42:43]
	;; [unrolled: 1-line block ×12, first 2 shown]
	s_waitcnt vmcnt(0)
	ds_write_b128 v4, v[8:11]
	ds_write_b128 v4, v[36:39] offset:272
	buffer_load_dword v4, off, s[60:63], 0 offset:356 ; 4-byte Folded Reload
	s_waitcnt vmcnt(0)
	ds_write_b128 v4, v[12:15]
	ds_write_b128 v4, v[40:43] offset:272
	buffer_load_dword v4, off, s[60:63], 0 offset:352 ; 4-byte Folded Reload
	;; [unrolled: 4-line block ×6, first 2 shown]
	s_waitcnt vmcnt(0)
	ds_write_b128 v4, v[0:3]
	ds_write_b128 v4, v[60:63] offset:272
	s_waitcnt lgkmcnt(0)
	s_barrier
	buffer_gl0_inv
	ds_read_b128 v[0:3], v116 offset:15232
	ds_read_b128 v[4:7], v116 offset:17136
	;; [unrolled: 1-line block ×8, first 2 shown]
	s_clause 0xb
	buffer_load_dword v82, off, s[60:63], 0 offset:284
	buffer_load_dword v83, off, s[60:63], 0 offset:288
	;; [unrolled: 1-line block ×12, first 2 shown]
	s_waitcnt vmcnt(8) lgkmcnt(7)
	v_mul_f64 v[48:49], v[84:85], v[2:3]
	v_mul_f64 v[50:51], v[84:85], v[0:1]
	s_waitcnt vmcnt(0) lgkmcnt(5)
	v_mul_f64 v[56:57], v[94:95], v[10:11]
	v_mul_f64 v[58:59], v[94:95], v[8:9]
	s_clause 0x3
	buffer_load_dword v94, off, s[60:63], 0 offset:220
	buffer_load_dword v95, off, s[60:63], 0 offset:224
	;; [unrolled: 1-line block ×4, first 2 shown]
	v_mul_f64 v[52:53], v[104:105], v[6:7]
	v_mul_f64 v[54:55], v[104:105], v[4:5]
	v_fma_f64 v[80:81], v[82:83], v[0:1], v[48:49]
	v_fma_f64 v[82:83], v[82:83], v[2:3], -v[50:51]
	v_fma_f64 v[4:5], v[102:103], v[4:5], v[52:53]
	v_fma_f64 v[52:53], v[92:93], v[8:9], v[56:57]
	v_fma_f64 v[6:7], v[102:103], v[6:7], -v[54:55]
	v_fma_f64 v[54:55], v[92:93], v[10:11], -v[58:59]
	s_waitcnt vmcnt(0) lgkmcnt(4)
	v_mul_f64 v[60:61], v[96:97], v[14:15]
	v_mul_f64 v[62:63], v[96:97], v[12:13]
	s_clause 0x3
	buffer_load_dword v96, off, s[60:63], 0 offset:236
	buffer_load_dword v97, off, s[60:63], 0 offset:240
	;; [unrolled: 1-line block ×4, first 2 shown]
	v_fma_f64 v[56:57], v[94:95], v[12:13], v[60:61]
	v_fma_f64 v[58:59], v[94:95], v[14:15], -v[62:63]
	s_waitcnt vmcnt(0) lgkmcnt(3)
	v_mul_f64 v[64:65], v[98:99], v[18:19]
	v_mul_f64 v[66:67], v[98:99], v[16:17]
	s_clause 0xb
	buffer_load_dword v98, off, s[60:63], 0 offset:252
	buffer_load_dword v99, off, s[60:63], 0 offset:256
	buffer_load_dword v100, off, s[60:63], 0 offset:260
	buffer_load_dword v101, off, s[60:63], 0 offset:264
	buffer_load_dword v88, off, s[60:63], 0 offset:188
	buffer_load_dword v89, off, s[60:63], 0 offset:192
	buffer_load_dword v90, off, s[60:63], 0 offset:196
	buffer_load_dword v91, off, s[60:63], 0 offset:200
	buffer_load_dword v84, off, s[60:63], 0 offset:172
	buffer_load_dword v85, off, s[60:63], 0 offset:176
	buffer_load_dword v86, off, s[60:63], 0 offset:180
	buffer_load_dword v87, off, s[60:63], 0 offset:184
	ds_read_b128 v[32:35], v116
	ds_read_b128 v[36:39], v116 offset:1904
	ds_read_b128 v[40:43], v116 offset:3808
	;; [unrolled: 1-line block ×7, first 2 shown]
	s_waitcnt vmcnt(0) lgkmcnt(0)
	s_barrier
	buffer_gl0_inv
	v_fma_f64 v[60:61], v[96:97], v[16:17], v[64:65]
	v_fma_f64 v[62:63], v[96:97], v[18:19], -v[66:67]
	v_add_f64 v[16:17], v[32:33], -v[80:81]
	v_add_f64 v[18:19], v[34:35], -v[82:83]
	v_fma_f64 v[32:33], v[32:33], 2.0, -v[16:17]
	v_fma_f64 v[34:35], v[34:35], 2.0, -v[18:19]
	v_mul_f64 v[68:69], v[100:101], v[22:23]
	v_mul_f64 v[72:73], v[90:91], v[26:27]
	;; [unrolled: 1-line block ×6, first 2 shown]
	v_fma_f64 v[64:65], v[98:99], v[20:21], v[68:69]
	v_fma_f64 v[68:69], v[88:89], v[24:25], v[72:73]
	;; [unrolled: 1-line block ×3, first 2 shown]
	v_add_f64 v[20:21], v[36:37], -v[4:5]
	v_add_f64 v[24:25], v[40:41], -v[52:53]
	v_add_f64 v[52:53], v[0:1], -v[60:61]
	v_fma_f64 v[66:67], v[98:99], v[22:23], -v[70:71]
	v_add_f64 v[22:23], v[38:39], -v[6:7]
	v_fma_f64 v[70:71], v[88:89], v[26:27], -v[74:75]
	v_add_f64 v[26:27], v[42:43], -v[54:55]
	;; [unrolled: 2-line block ×3, first 2 shown]
	v_add_f64 v[30:31], v[46:47], -v[58:59]
	v_add_f64 v[54:55], v[2:3], -v[62:63]
	;; [unrolled: 1-line block ×5, first 2 shown]
	v_fma_f64 v[36:37], v[36:37], 2.0, -v[20:21]
	v_fma_f64 v[40:41], v[40:41], 2.0, -v[24:25]
	;; [unrolled: 1-line block ×3, first 2 shown]
	v_add_f64 v[58:59], v[50:51], -v[66:67]
	v_fma_f64 v[38:39], v[38:39], 2.0, -v[22:23]
	v_add_f64 v[62:63], v[10:11], -v[70:71]
	v_fma_f64 v[42:43], v[42:43], 2.0, -v[26:27]
	;; [unrolled: 2-line block ×3, first 2 shown]
	v_fma_f64 v[46:47], v[46:47], 2.0, -v[30:31]
	v_fma_f64 v[70:71], v[2:3], 2.0, -v[54:55]
	;; [unrolled: 1-line block ×5, first 2 shown]
	buffer_load_dword v12, off, s[60:63], 0 offset:328 ; 4-byte Folded Reload
	s_waitcnt vmcnt(0)
	ds_write_b128 v12, v[16:19] offset:544
	ds_write_b128 v12, v[32:35]
	buffer_load_dword v12, off, s[60:63], 0 offset:332 ; 4-byte Folded Reload
	v_fma_f64 v[50:51], v[50:51], 2.0, -v[58:59]
	v_fma_f64 v[10:11], v[10:11], 2.0, -v[62:63]
	;; [unrolled: 1-line block ×3, first 2 shown]
	s_waitcnt vmcnt(0)
	ds_write_b128 v12, v[36:39]
	ds_write_b128 v12, v[20:23] offset:544
	buffer_load_dword v12, off, s[60:63], 0 offset:320 ; 4-byte Folded Reload
	s_waitcnt vmcnt(0)
	ds_write_b128 v12, v[40:43]
	ds_write_b128 v12, v[24:27] offset:544
	buffer_load_dword v12, off, s[60:63], 0 offset:316 ; 4-byte Folded Reload
	;; [unrolled: 4-line block ×6, first 2 shown]
	s_waitcnt vmcnt(0)
	ds_write_b128 v8, v[0:3]
	ds_write_b128 v8, v[4:7] offset:544
	s_waitcnt lgkmcnt(0)
	s_barrier
	buffer_gl0_inv
	ds_read_b128 v[12:15], v116
	ds_read_b128 v[8:11], v116 offset:1904
	ds_read_b128 v[48:51], v116 offset:4352
	ds_read_b128 v[28:31], v116 offset:6256
	ds_read_b128 v[52:55], v116 offset:8704
	ds_read_b128 v[24:27], v116 offset:10608
	ds_read_b128 v[40:43], v116 offset:13056
	ds_read_b128 v[16:19], v116 offset:14960
	ds_read_b128 v[44:47], v116 offset:17408
	ds_read_b128 v[20:23], v116 offset:19312
	ds_read_b128 v[56:59], v116 offset:21760
	ds_read_b128 v[32:35], v116 offset:23664
	ds_read_b128 v[60:63], v116 offset:26112
	ds_read_b128 v[36:39], v116 offset:28016
	s_and_saveexec_b32 s1, s0
	s_cbranch_execz .LBB0_19
; %bb.18:
	ds_read_b128 v[0:3], v116 offset:3808
	ds_read_b128 v[4:7], v116 offset:8160
	;; [unrolled: 1-line block ×5, first 2 shown]
	s_waitcnt lgkmcnt(0)
	buffer_store_dword v64, off, s[60:63], 0 offset:12 ; 4-byte Folded Spill
	buffer_store_dword v65, off, s[60:63], 0 offset:16 ; 4-byte Folded Spill
	;; [unrolled: 1-line block ×4, first 2 shown]
	ds_read_b128 v[64:67], v116 offset:25568
	s_waitcnt lgkmcnt(0)
	buffer_store_dword v64, off, s[60:63], 0 offset:28 ; 4-byte Folded Spill
	buffer_store_dword v65, off, s[60:63], 0 offset:32 ; 4-byte Folded Spill
	buffer_store_dword v66, off, s[60:63], 0 offset:36 ; 4-byte Folded Spill
	buffer_store_dword v67, off, s[60:63], 0 offset:40 ; 4-byte Folded Spill
	ds_read_b128 v[127:130], v116 offset:29920
.LBB0_19:
	s_or_b32 exec_lo, exec_lo, s1
	s_clause 0x3
	buffer_load_dword v92, off, s[60:63], 0 offset:368
	buffer_load_dword v93, off, s[60:63], 0 offset:372
	;; [unrolled: 1-line block ×4, first 2 shown]
	s_waitcnt lgkmcnt(3)
	v_mul_f64 v[76:77], v[121:122], v[58:59]
	v_mul_f64 v[78:79], v[121:122], v[56:57]
	s_mov_b32 s10, 0x37e14327
	s_mov_b32 s2, 0x36b3c0b5
	s_mov_b32 s11, 0x3fe948f6
	s_mov_b32 s3, 0x3fac98ee
	s_mov_b32 s20, 0xe976ee23
	s_mov_b32 s21, 0x3fe11646
	s_mov_b32 s18, 0x5476071b
	s_mov_b32 s19, 0x3fe77f67
	s_mov_b32 s23, 0xbfe77f67
	s_mov_b32 s22, s18
	s_mov_b32 s8, 0x429ad128
	s_mov_b32 s9, 0xbfebfeb5
	s_mov_b32 s24, 0xb247c609
	s_mov_b32 s25, 0xbfd5d0dc
	s_mov_b32 s16, 0xaaaaaaaa
	s_mov_b32 s17, 0xbff2aaaa
	s_mov_b32 s27, 0x3fd5d0dc
	s_mov_b32 s26, s24
	s_mov_b32 s28, 0x37c3f68c
	s_mov_b32 s29, 0xbfdc38aa
	v_fma_f64 v[56:57], v[119:120], v[56:57], v[76:77]
	v_fma_f64 v[58:59], v[119:120], v[58:59], -v[78:79]
	s_waitcnt vmcnt(0)
	v_mul_f64 v[64:65], v[94:95], v[50:51]
	v_mul_f64 v[66:67], v[94:95], v[48:49]
	s_clause 0x7
	buffer_load_dword v94, off, s[60:63], 0 offset:480
	buffer_load_dword v95, off, s[60:63], 0 offset:484
	;; [unrolled: 1-line block ×8, first 2 shown]
	v_fma_f64 v[48:49], v[92:93], v[48:49], v[64:65]
	v_fma_f64 v[50:51], v[92:93], v[50:51], -v[66:67]
	s_waitcnt lgkmcnt(0)
	v_mul_f64 v[92:93], v[146:147], v[38:39]
	s_waitcnt vmcnt(4)
	v_mul_f64 v[68:69], v[96:97], v[54:55]
	v_mul_f64 v[70:71], v[96:97], v[52:53]
	s_clause 0x3
	buffer_load_dword v96, off, s[60:63], 0 offset:384
	buffer_load_dword v97, off, s[60:63], 0 offset:388
	;; [unrolled: 1-line block ×4, first 2 shown]
	s_waitcnt vmcnt(4)
	v_mul_f64 v[72:73], v[104:105], v[62:63]
	v_mul_f64 v[74:75], v[104:105], v[60:61]
	v_fma_f64 v[52:53], v[94:95], v[52:53], v[68:69]
	v_fma_f64 v[54:55], v[94:95], v[54:55], -v[70:71]
	v_mul_f64 v[94:95], v[146:147], v[36:37]
	v_fma_f64 v[60:61], v[102:103], v[60:61], v[72:73]
	v_fma_f64 v[62:63], v[102:103], v[62:63], -v[74:75]
	v_fma_f64 v[36:37], v[144:145], v[36:37], v[92:93]
	v_fma_f64 v[38:39], v[144:145], v[38:39], -v[94:95]
	s_waitcnt vmcnt(0)
	v_mul_f64 v[80:81], v[98:99], v[42:43]
	v_mul_f64 v[82:83], v[98:99], v[40:41]
	s_clause 0x7
	buffer_load_dword v98, off, s[60:63], 0 offset:400
	buffer_load_dword v99, off, s[60:63], 0 offset:404
	;; [unrolled: 1-line block ×8, first 2 shown]
	v_fma_f64 v[40:41], v[96:97], v[40:41], v[80:81]
	v_fma_f64 v[42:43], v[96:97], v[42:43], -v[82:83]
	v_add_f64 v[80:81], v[48:49], v[60:61]
	v_add_f64 v[82:83], v[50:51], v[62:63]
	s_waitcnt vmcnt(4)
	v_mul_f64 v[84:85], v[100:101], v[46:47]
	v_mul_f64 v[86:87], v[100:101], v[44:45]
	s_waitcnt vmcnt(0)
	v_mul_f64 v[88:89], v[108:109], v[30:31]
	v_mul_f64 v[90:91], v[108:109], v[28:29]
	s_clause 0x7
	buffer_load_dword v108, off, s[60:63], 0 offset:464
	buffer_load_dword v109, off, s[60:63], 0 offset:468
	;; [unrolled: 1-line block ×8, first 2 shown]
	v_fma_f64 v[44:45], v[98:99], v[44:45], v[84:85]
	v_fma_f64 v[46:47], v[98:99], v[46:47], -v[86:87]
	v_add_f64 v[84:85], v[52:53], v[56:57]
	v_add_f64 v[86:87], v[54:55], v[58:59]
	v_fma_f64 v[28:29], v[106:107], v[28:29], v[88:89]
	v_fma_f64 v[30:31], v[106:107], v[30:31], -v[90:91]
	v_add_f64 v[52:53], v[52:53], -v[56:57]
	v_add_f64 v[54:55], v[54:55], -v[58:59]
	s_waitcnt vmcnt(4)
	v_mul_f64 v[64:65], v[110:111], v[26:27]
	s_waitcnt vmcnt(0)
	v_mul_f64 v[68:69], v[102:103], v[18:19]
	v_mul_f64 v[70:71], v[102:103], v[16:17]
	s_clause 0x7
	buffer_load_dword v102, off, s[60:63], 0 offset:432
	buffer_load_dword v103, off, s[60:63], 0 offset:436
	;; [unrolled: 1-line block ×8, first 2 shown]
	v_mul_f64 v[66:67], v[110:111], v[24:25]
	s_waitcnt vmcnt(0)
	s_waitcnt_vscnt null, 0x0
	s_barrier
	buffer_gl0_inv
	v_fma_f64 v[24:25], v[108:109], v[24:25], v[64:65]
	v_add_f64 v[64:65], v[40:41], v[44:45]
	v_fma_f64 v[16:17], v[100:101], v[16:17], v[68:69]
	v_add_f64 v[68:69], v[84:85], v[80:81]
	v_fma_f64 v[18:19], v[100:101], v[18:19], -v[70:71]
	v_fma_f64 v[26:27], v[108:109], v[26:27], -v[66:67]
	v_add_f64 v[66:67], v[42:43], v[46:47]
	v_add_f64 v[40:41], v[44:45], -v[40:41]
	v_add_f64 v[42:43], v[46:47], -v[42:43]
	v_add_f64 v[44:45], v[48:49], -v[60:61]
	v_add_f64 v[46:47], v[50:51], -v[62:63]
	v_add_f64 v[48:49], v[28:29], v[36:37]
	v_add_f64 v[50:51], v[30:31], v[38:39]
	v_add_f64 v[28:29], v[28:29], -v[36:37]
	v_add_f64 v[30:31], v[30:31], -v[38:39]
	v_add_f64 v[70:71], v[86:87], -v[82:83]
	v_add_f64 v[56:57], v[80:81], -v[64:65]
	v_add_f64 v[60:61], v[64:65], -v[84:85]
	v_add_f64 v[58:59], v[82:83], -v[66:67]
	v_add_f64 v[62:63], v[66:67], -v[86:87]
	v_mul_f64 v[56:57], v[56:57], s[10:11]
	v_mul_f64 v[58:59], v[58:59], s[10:11]
	;; [unrolled: 1-line block ×6, first 2 shown]
	v_fma_f64 v[20:21], v[102:103], v[20:21], v[72:73]
	v_fma_f64 v[32:33], v[119:120], v[32:33], v[76:77]
	v_fma_f64 v[34:35], v[119:120], v[34:35], -v[78:79]
	v_add_f64 v[76:77], v[86:87], v[82:83]
	v_fma_f64 v[22:23], v[102:103], v[22:23], -v[74:75]
	v_add_f64 v[72:73], v[40:41], v[52:53]
	v_add_f64 v[74:75], v[42:43], v[54:55]
	v_mul_f64 v[82:83], v[62:63], s[2:3]
	v_fma_f64 v[62:63], v[62:63], s[2:3], v[58:59]
	v_fma_f64 v[58:59], v[70:71], s[22:23], -v[58:59]
	v_add_f64 v[36:37], v[24:25], v[32:33]
	v_add_f64 v[38:39], v[26:27], v[34:35]
	v_add_f64 v[24:25], v[24:25], -v[32:33]
	v_add_f64 v[32:33], v[64:65], v[68:69]
	v_add_f64 v[64:65], v[66:67], v[76:77]
	v_add_f64 v[26:27], v[26:27], -v[34:35]
	v_add_f64 v[34:35], v[16:17], v[20:21]
	v_add_f64 v[66:67], v[18:19], v[22:23]
	v_add_f64 v[16:17], v[20:21], -v[16:17]
	v_add_f64 v[18:19], v[22:23], -v[18:19]
	v_add_f64 v[20:21], v[40:41], -v[52:53]
	;; [unrolled: 1-line block ×3, first 2 shown]
	v_mul_f64 v[80:81], v[60:61], s[2:3]
	v_add_f64 v[22:23], v[42:43], -v[54:55]
	v_add_f64 v[52:53], v[52:53], -v[44:45]
	;; [unrolled: 1-line block ×4, first 2 shown]
	v_fma_f64 v[60:61], v[60:61], s[2:3], v[56:57]
	v_add_f64 v[42:43], v[46:47], -v[42:43]
	v_add_f64 v[44:45], v[72:73], v[44:45]
	v_add_f64 v[46:47], v[74:75], v[46:47]
	;; [unrolled: 1-line block ×6, first 2 shown]
	v_add_f64 v[84:85], v[48:49], -v[34:35]
	v_add_f64 v[86:87], v[50:51], -v[66:67]
	;; [unrolled: 1-line block ×4, first 2 shown]
	v_mul_f64 v[20:21], v[20:21], s[20:21]
	v_add_f64 v[92:93], v[16:17], -v[24:25]
	v_add_f64 v[94:95], v[18:19], -v[26:27]
	v_fma_f64 v[56:57], v[68:69], s[22:23], -v[56:57]
	v_mul_f64 v[22:23], v[22:23], s[20:21]
	v_mul_f64 v[72:73], v[52:53], s[8:9]
	;; [unrolled: 1-line block ×3, first 2 shown]
	v_add_f64 v[36:37], v[36:37], -v[48:49]
	v_add_f64 v[38:39], v[38:39], -v[50:51]
	v_add_f64 v[34:35], v[34:35], v[76:77]
	v_add_f64 v[66:67], v[66:67], v[78:79]
	v_fma_f64 v[76:77], v[68:69], s[18:19], -v[80:81]
	v_add_f64 v[68:69], v[24:25], -v[28:29]
	v_add_f64 v[80:81], v[26:27], -v[30:31]
	v_fma_f64 v[78:79], v[70:71], s[18:19], -v[82:83]
	v_add_f64 v[24:25], v[16:17], v[24:25]
	v_add_f64 v[26:27], v[18:19], v[26:27]
	v_mul_f64 v[48:49], v[84:85], s[10:11]
	v_mul_f64 v[50:51], v[86:87], s[10:11]
	v_fma_f64 v[70:71], v[40:41], s[24:25], v[20:21]
	v_fma_f64 v[20:21], v[52:53], s[8:9], -v[20:21]
	v_mul_f64 v[52:53], v[88:89], s[2:3]
	v_mul_f64 v[84:85], v[90:91], s[2:3]
	v_add_f64 v[16:17], v[28:29], -v[16:17]
	v_add_f64 v[18:19], v[30:31], -v[18:19]
	v_mul_f64 v[86:87], v[94:95], s[20:21]
	v_mul_f64 v[92:93], v[92:93], s[20:21]
	v_fma_f64 v[32:33], v[32:33], s[16:17], v[12:13]
	v_fma_f64 v[64:65], v[64:65], s[16:17], v[14:15]
	;; [unrolled: 1-line block ×3, first 2 shown]
	v_fma_f64 v[40:41], v[40:41], s[26:27], -v[72:73]
	v_add_f64 v[8:9], v[8:9], v[34:35]
	v_add_f64 v[10:11], v[10:11], v[66:67]
	v_fma_f64 v[42:43], v[42:43], s[26:27], -v[74:75]
	v_mul_f64 v[96:97], v[68:69], s[8:9]
	v_mul_f64 v[94:95], v[80:81], s[8:9]
	v_fma_f64 v[22:23], v[54:55], s[8:9], -v[22:23]
	v_add_f64 v[24:25], v[24:25], v[28:29]
	v_add_f64 v[26:27], v[26:27], v[30:31]
	v_fma_f64 v[52:53], v[36:37], s[18:19], -v[52:53]
	v_fma_f64 v[74:75], v[38:39], s[18:19], -v[84:85]
	;; [unrolled: 1-line block ×5, first 2 shown]
	v_add_f64 v[54:55], v[60:61], v[32:33]
	v_add_f64 v[60:61], v[62:63], v[64:65]
	;; [unrolled: 1-line block ×3, first 2 shown]
	v_fma_f64 v[76:77], v[80:81], s[8:9], -v[86:87]
	v_fma_f64 v[28:29], v[34:35], s[16:17], v[8:9]
	v_fma_f64 v[30:31], v[66:67], s[16:17], v[10:11]
	;; [unrolled: 1-line block ×6, first 2 shown]
	v_fma_f64 v[18:19], v[18:19], s[26:27], -v[94:95]
	v_fma_f64 v[16:17], v[16:17], s[26:27], -v[96:97]
	v_add_f64 v[72:73], v[78:79], v[64:65]
	v_add_f64 v[32:33], v[56:57], v[32:33]
	;; [unrolled: 1-line block ×3, first 2 shown]
	v_fma_f64 v[58:59], v[46:47], s[28:29], v[82:83]
	v_fma_f64 v[64:65], v[44:45], s[28:29], v[70:71]
	;; [unrolled: 1-line block ×8, first 2 shown]
	v_add_f64 v[78:79], v[36:37], v[28:29]
	v_add_f64 v[80:81], v[38:39], v[30:31]
	;; [unrolled: 1-line block ×4, first 2 shown]
	v_fma_f64 v[82:83], v[26:27], s[28:29], v[48:49]
	v_fma_f64 v[84:85], v[24:25], s[28:29], v[50:51]
	;; [unrolled: 1-line block ×4, first 2 shown]
	v_add_f64 v[52:53], v[52:53], v[28:29]
	v_add_f64 v[74:75], v[74:75], v[30:31]
	;; [unrolled: 1-line block ×3, first 2 shown]
	v_add_f64 v[18:19], v[60:61], -v[64:65]
	v_add_f64 v[20:21], v[42:43], v[32:33]
	v_add_f64 v[22:23], v[56:57], -v[40:41]
	v_add_f64 v[24:25], v[62:63], -v[46:47]
	v_add_f64 v[26:27], v[44:45], v[72:73]
	v_add_f64 v[28:29], v[46:47], v[62:63]
	v_add_f64 v[30:31], v[72:73], -v[44:45]
	v_add_f64 v[32:33], v[32:33], -v[42:43]
	v_add_f64 v[34:35], v[40:41], v[56:57]
	v_add_f64 v[36:37], v[54:55], -v[58:59]
	v_add_f64 v[38:39], v[64:65], v[60:61]
	v_add_f64 v[40:41], v[82:83], v[70:71]
	v_add_f64 v[42:43], v[66:67], -v[84:85]
	v_add_f64 v[44:45], v[86:87], v[78:79]
	v_add_f64 v[46:47], v[80:81], -v[88:89]
	v_add_f64 v[48:49], v[52:53], -v[76:77]
	v_add_f64 v[50:51], v[68:69], v[74:75]
	v_add_f64 v[52:53], v[76:77], v[52:53]
	v_add_f64 v[54:55], v[74:75], -v[68:69]
	v_add_f64 v[56:57], v[78:79], -v[86:87]
	v_add_f64 v[58:59], v[88:89], v[80:81]
	v_add_f64 v[60:61], v[70:71], -v[82:83]
	v_add_f64 v[62:63], v[84:85], v[66:67]
	ds_write_b128 v117, v[12:15]
	ds_write_b128 v117, v[16:19] offset:1088
	ds_write_b128 v117, v[20:23] offset:2176
	;; [unrolled: 1-line block ×6, first 2 shown]
	ds_write_b128 v139, v[8:11]
	ds_write_b128 v139, v[40:43] offset:1088
	ds_write_b128 v139, v[44:47] offset:2176
	;; [unrolled: 1-line block ×6, first 2 shown]
	s_mov_b32 s1, exec_lo
	buffer_load_dword v108, off, s[60:63], 0 offset:8 ; 4-byte Folded Reload
	s_and_b32 s0, s1, s0
	s_mov_b32 exec_lo, s0
	s_cbranch_execz .LBB0_21
; %bb.20:
	s_clause 0x13
	buffer_load_dword v50, off, s[60:63], 0 offset:616
	buffer_load_dword v51, off, s[60:63], 0 offset:620
	;; [unrolled: 1-line block ×20, first 2 shown]
	s_waitcnt vmcnt(16)
	v_mul_f64 v[8:9], v[52:53], v[127:128]
	v_mul_f64 v[18:19], v[52:53], v[129:130]
	s_clause 0x7
	buffer_load_dword v42, off, s[60:63], 0 offset:584
	buffer_load_dword v43, off, s[60:63], 0 offset:588
	;; [unrolled: 1-line block ×8, first 2 shown]
	s_waitcnt vmcnt(8)
	v_mul_f64 v[14:15], v[38:39], v[204:205]
	v_mul_f64 v[20:21], v[38:39], v[206:207]
	s_clause 0x3
	buffer_load_dword v38, off, s[60:63], 0 offset:568
	buffer_load_dword v39, off, s[60:63], 0 offset:572
	;; [unrolled: 1-line block ×4, first 2 shown]
	v_mul_f64 v[10:11], v[34:35], v[4:5]
	v_mul_f64 v[12:13], v[48:49], v[56:57]
	;; [unrolled: 1-line block ×4, first 2 shown]
	v_fma_f64 v[8:9], v[50:51], v[129:130], -v[8:9]
	v_fma_f64 v[6:7], v[32:33], v[6:7], -v[10:11]
	;; [unrolled: 1-line block ×4, first 2 shown]
	v_fma_f64 v[4:5], v[32:33], v[4:5], v[16:17]
	v_fma_f64 v[14:15], v[50:51], v[127:128], v[18:19]
	;; [unrolled: 1-line block ×4, first 2 shown]
	v_add_f64 v[32:33], v[4:5], v[14:15]
	v_add_f64 v[4:5], v[4:5], -v[14:15]
	v_add_f64 v[34:35], v[16:17], v[18:19]
	v_add_f64 v[16:17], v[16:17], -v[18:19]
	s_waitcnt vmcnt(4)
	v_mul_f64 v[24:25], v[44:45], v[54:55]
	v_mul_f64 v[30:31], v[44:45], v[52:53]
	s_waitcnt vmcnt(0)
	v_mul_f64 v[26:27], v[40:41], v[114:115]
	v_mul_f64 v[28:29], v[40:41], v[112:113]
	v_fma_f64 v[20:21], v[42:43], v[52:53], v[24:25]
	v_fma_f64 v[22:23], v[38:39], v[112:113], v[26:27]
	v_fma_f64 v[24:25], v[38:39], v[114:115], -v[28:29]
	v_fma_f64 v[26:27], v[42:43], v[54:55], -v[30:31]
	v_add_f64 v[28:29], v[6:7], v[8:9]
	v_add_f64 v[30:31], v[12:13], v[10:11]
	v_add_f64 v[10:11], v[12:13], -v[10:11]
	v_add_f64 v[6:7], v[6:7], -v[8:9]
	v_add_f64 v[8:9], v[34:35], v[32:33]
	v_add_f64 v[38:39], v[16:17], -v[4:5]
	v_add_f64 v[36:37], v[20:21], -v[22:23]
	v_add_f64 v[20:21], v[22:23], v[20:21]
	v_add_f64 v[18:19], v[24:25], v[26:27]
	v_add_f64 v[22:23], v[26:27], -v[24:25]
	v_add_f64 v[14:15], v[30:31], v[28:29]
	v_add_f64 v[42:43], v[10:11], -v[6:7]
	v_add_f64 v[12:13], v[36:37], -v[16:17]
	;; [unrolled: 1-line block ×5, first 2 shown]
	v_add_f64 v[14:15], v[18:19], v[14:15]
	v_add_f64 v[18:19], v[18:19], -v[30:31]
	v_add_f64 v[8:9], v[20:21], v[8:9]
	v_add_f64 v[20:21], v[20:21], -v[34:35]
	v_add_f64 v[44:45], v[4:5], -v[36:37]
	v_add_f64 v[16:17], v[36:37], v[16:17]
	v_add_f64 v[10:11], v[22:23], v[10:11]
	v_mul_f64 v[36:37], v[38:39], s[8:9]
	v_add_f64 v[22:23], v[6:7], -v[22:23]
	v_add_f64 v[28:29], v[30:31], -v[28:29]
	;; [unrolled: 1-line block ×3, first 2 shown]
	v_mul_f64 v[46:47], v[42:43], s[8:9]
	v_mul_f64 v[12:13], v[12:13], s[20:21]
	;; [unrolled: 1-line block ×5, first 2 shown]
	v_add_f64 v[2:3], v[2:3], v[14:15]
	v_mul_f64 v[30:31], v[18:19], s[2:3]
	v_add_f64 v[0:1], v[0:1], v[8:9]
	v_mul_f64 v[34:35], v[20:21], s[2:3]
	v_add_f64 v[4:5], v[16:17], v[4:5]
	v_add_f64 v[6:7], v[10:11], v[6:7]
	v_fma_f64 v[10:11], v[44:45], s[24:25], v[12:13]
	v_fma_f64 v[12:13], v[38:39], s[8:9], -v[12:13]
	v_fma_f64 v[16:17], v[18:19], s[2:3], v[24:25]
	v_fma_f64 v[18:19], v[20:21], s[2:3], v[26:27]
	v_fma_f64 v[20:21], v[44:45], s[26:27], -v[36:37]
	v_fma_f64 v[14:15], v[14:15], s[16:17], v[2:3]
	v_fma_f64 v[24:25], v[28:29], s[22:23], -v[24:25]
	v_fma_f64 v[28:29], v[28:29], s[18:19], -v[30:31]
	v_fma_f64 v[30:31], v[22:23], s[24:25], v[40:41]
	v_fma_f64 v[8:9], v[8:9], s[16:17], v[0:1]
	v_fma_f64 v[26:27], v[32:33], s[22:23], -v[26:27]
	v_fma_f64 v[32:33], v[32:33], s[18:19], -v[34:35]
	;; [unrolled: 1-line block ×4, first 2 shown]
	v_fma_f64 v[34:35], v[4:5], s[28:29], v[10:11]
	v_fma_f64 v[20:21], v[4:5], s[28:29], v[20:21]
	;; [unrolled: 1-line block ×3, first 2 shown]
	v_add_f64 v[12:13], v[16:17], v[14:15]
	v_add_f64 v[16:17], v[24:25], v[14:15]
	;; [unrolled: 1-line block ×3, first 2 shown]
	v_fma_f64 v[28:29], v[6:7], s[28:29], v[30:31]
	v_add_f64 v[38:39], v[18:19], v[8:9]
	v_add_f64 v[40:41], v[26:27], v[8:9]
	v_fma_f64 v[30:31], v[6:7], s[28:29], v[22:23]
	v_fma_f64 v[36:37], v[6:7], s[28:29], v[36:37]
	v_add_f64 v[8:9], v[32:33], v[8:9]
	v_add_f64 v[26:27], v[12:13], -v[34:35]
	v_add_f64 v[10:11], v[20:21], v[16:17]
	v_add_f64 v[14:15], v[24:25], -v[4:5]
	v_add_f64 v[18:19], v[4:5], v[24:25]
	v_add_f64 v[24:25], v[28:29], v[38:39]
	v_add_f64 v[4:5], v[38:39], -v[28:29]
	buffer_load_dword v29, off, s[60:63], 0 offset:324 ; 4-byte Folded Reload
	v_add_f64 v[22:23], v[16:17], -v[20:21]
	v_add_f64 v[20:21], v[30:31], v[40:41]
	v_add_f64 v[16:17], v[8:9], -v[36:37]
	v_add_f64 v[6:7], v[34:35], v[12:13]
	v_add_f64 v[12:13], v[36:37], v[8:9]
	v_add_f64 v[8:9], v[40:41], -v[30:31]
	v_mov_b32_e32 v28, 4
	s_waitcnt vmcnt(0)
	v_lshlrev_b32_sdwa v28, v28, v29 dst_sel:DWORD dst_unused:UNUSED_PAD src0_sel:DWORD src1_sel:WORD_0
	ds_write_b128 v28, v[0:3] offset:22848
	ds_write_b128 v28, v[24:27] offset:23936
	ds_write_b128 v28, v[20:23] offset:25024
	ds_write_b128 v28, v[16:19] offset:26112
	ds_write_b128 v28, v[12:15] offset:27200
	ds_write_b128 v28, v[8:11] offset:28288
	ds_write_b128 v28, v[4:7] offset:29376
.LBB0_21:
	s_or_b32 exec_lo, exec_lo, s1
	s_waitcnt vmcnt(0) lgkmcnt(0)
	s_barrier
	buffer_gl0_inv
	ds_read_b128 v[0:3], v116 offset:7616
	ds_read_b128 v[4:7], v116 offset:15232
	;; [unrolled: 1-line block ×6, first 2 shown]
	ds_read_b128 v[24:27], v116
	ds_read_b128 v[28:31], v116 offset:1904
	ds_read_b128 v[32:35], v116 offset:11424
	;; [unrolled: 1-line block ×9, first 2 shown]
	s_waitcnt lgkmcnt(15)
	v_mul_f64 v[64:65], v[125:126], v[2:3]
	v_mul_f64 v[66:67], v[125:126], v[0:1]
	s_waitcnt lgkmcnt(14)
	v_mul_f64 v[68:69], v[133:134], v[6:7]
	v_mul_f64 v[70:71], v[133:134], v[4:5]
	;; [unrolled: 3-line block ×11, first 2 shown]
	v_fma_f64 v[0:1], v[123:124], v[0:1], v[64:65]
	v_fma_f64 v[2:3], v[123:124], v[2:3], -v[66:67]
	s_waitcnt lgkmcnt(0)
	v_mul_f64 v[64:65], v[198:199], v[62:63]
	v_mul_f64 v[66:67], v[198:199], v[60:61]
	v_fma_f64 v[4:5], v[131:132], v[4:5], v[68:69]
	v_fma_f64 v[6:7], v[131:132], v[6:7], -v[70:71]
	v_fma_f64 v[8:9], v[160:161], v[8:9], v[72:73]
	v_fma_f64 v[10:11], v[160:161], v[10:11], -v[74:75]
	;; [unrolled: 2-line block ×11, first 2 shown]
	v_add_f64 v[64:65], v[24:25], -v[4:5]
	v_add_f64 v[66:67], v[26:27], -v[6:7]
	;; [unrolled: 1-line block ×16, first 2 shown]
	v_fma_f64 v[60:61], v[24:25], 2.0, -v[64:65]
	v_fma_f64 v[62:63], v[26:27], 2.0, -v[66:67]
	v_fma_f64 v[24:25], v[0:1], 2.0, -v[4:5]
	v_fma_f64 v[26:27], v[2:3], 2.0, -v[6:7]
	v_add_f64 v[0:1], v[64:65], v[6:7]
	v_add_f64 v[2:3], v[66:67], -v[4:5]
	v_fma_f64 v[76:77], v[28:29], 2.0, -v[68:69]
	v_fma_f64 v[78:79], v[30:31], 2.0, -v[70:71]
	v_fma_f64 v[28:29], v[12:13], 2.0, -v[8:9]
	v_fma_f64 v[30:31], v[14:15], 2.0, -v[10:11]
	v_add_f64 v[4:5], v[68:69], v[10:11]
	v_add_f64 v[6:7], v[70:71], -v[8:9]
	;; [unrolled: 6-line block ×4, first 2 shown]
	v_add_f64 v[16:17], v[60:61], -v[24:25]
	v_add_f64 v[18:19], v[62:63], -v[26:27]
	;; [unrolled: 1-line block ×6, first 2 shown]
	v_fma_f64 v[32:33], v[64:65], 2.0, -v[0:1]
	v_fma_f64 v[34:35], v[66:67], 2.0, -v[2:3]
	;; [unrolled: 1-line block ×4, first 2 shown]
	v_add_f64 v[28:29], v[84:85], -v[36:37]
	v_add_f64 v[30:31], v[86:87], -v[38:39]
	v_fma_f64 v[36:37], v[68:69], 2.0, -v[4:5]
	v_fma_f64 v[38:39], v[70:71], 2.0, -v[6:7]
	;; [unrolled: 1-line block ×12, first 2 shown]
	ds_write_b128 v116, v[0:3] offset:22848
	ds_write_b128 v116, v[4:7] offset:24752
	;; [unrolled: 1-line block ×12, first 2 shown]
	ds_write_b128 v116, v[48:51]
	ds_write_b128 v116, v[52:55] offset:1904
	ds_write_b128 v116, v[56:59] offset:3808
	;; [unrolled: 1-line block ×3, first 2 shown]
	s_waitcnt lgkmcnt(0)
	s_barrier
	buffer_gl0_inv
	s_and_b32 exec_lo, exec_lo, vcc_lo
	s_cbranch_execz .LBB0_23
; %bb.22:
	global_load_dwordx4 v[0:3], v118, s[12:13]
	ds_read_b128 v[4:7], v116
	ds_read_b128 v[8:11], v118 offset:1792
	ds_read_b128 v[12:15], v118 offset:28672
	s_clause 0x1
	buffer_load_dword v18, off, s[60:63], 0
	buffer_load_dword v19, off, s[60:63], 0 offset:4
	s_mov_b32 s0, 0x1135c811
	s_mov_b32 s1, 0x3f4135c8
	v_add_co_u32 v22, s2, s12, v118
	v_add_co_ci_u32_e64 v23, null, s13, 0, s2
	s_mul_i32 s2, s5, 0x700
	s_mul_hi_u32 s3, s4, 0x700
	s_add_i32 s3, s3, s2
	s_waitcnt vmcnt(2) lgkmcnt(2)
	v_mul_f64 v[16:17], v[6:7], v[2:3]
	v_mul_f64 v[2:3], v[4:5], v[2:3]
	s_waitcnt vmcnt(1)
	v_mov_b32_e32 v20, v18
	s_waitcnt vmcnt(0)
	v_mad_u64_u32 v[18:19], null, s6, v20, 0
	s_mul_i32 s6, s4, 0x700
	v_fma_f64 v[4:5], v[4:5], v[0:1], v[16:17]
	v_fma_f64 v[2:3], v[0:1], v[6:7], -v[2:3]
	v_mad_u64_u32 v[6:7], null, s4, v108, 0
	v_mov_b32_e32 v0, v19
	v_mov_b32_e32 v1, v7
	v_mad_u64_u32 v[16:17], null, s7, v20, v[0:1]
	v_mov_b32_e32 v19, v16
	v_mad_u64_u32 v[20:21], null, s5, v108, v[1:2]
	v_mul_f64 v[0:1], v[4:5], s[0:1]
	v_mul_f64 v[2:3], v[2:3], s[0:1]
	v_lshlrev_b64 v[4:5], 4, v[18:19]
	v_mov_b32_e32 v7, v20
	v_add_co_u32 v20, vcc_lo, s14, v4
	v_add_co_ci_u32_e32 v21, vcc_lo, s15, v5, vcc_lo
	v_lshlrev_b64 v[6:7], 4, v[6:7]
	v_add_co_u32 v4, vcc_lo, v20, v6
	v_add_co_ci_u32_e32 v5, vcc_lo, v21, v7, vcc_lo
	v_add_co_u32 v16, vcc_lo, v4, s6
	global_store_dwordx4 v[4:5], v[0:3], off
	global_load_dwordx4 v[0:3], v118, s[12:13] offset:1792
	v_add_co_ci_u32_e32 v17, vcc_lo, s3, v5, vcc_lo
	v_add_co_u32 v4, vcc_lo, 0x800, v22
	v_add_co_ci_u32_e32 v5, vcc_lo, 0, v23, vcc_lo
	s_waitcnt vmcnt(0) lgkmcnt(1)
	v_mul_f64 v[6:7], v[10:11], v[2:3]
	v_mul_f64 v[2:3], v[8:9], v[2:3]
	v_fma_f64 v[6:7], v[8:9], v[0:1], v[6:7]
	v_fma_f64 v[2:3], v[0:1], v[10:11], -v[2:3]
	v_mul_f64 v[0:1], v[6:7], s[0:1]
	v_mul_f64 v[2:3], v[2:3], s[0:1]
	global_store_dwordx4 v[16:17], v[0:3], off
	global_load_dwordx4 v[0:3], v[4:5], off offset:1536
	ds_read_b128 v[4:7], v118 offset:3584
	ds_read_b128 v[8:11], v118 offset:5376
	s_waitcnt vmcnt(0) lgkmcnt(1)
	v_mul_f64 v[18:19], v[6:7], v[2:3]
	v_mul_f64 v[2:3], v[4:5], v[2:3]
	v_fma_f64 v[4:5], v[4:5], v[0:1], v[18:19]
	v_fma_f64 v[2:3], v[0:1], v[6:7], -v[2:3]
	v_mul_f64 v[0:1], v[4:5], s[0:1]
	v_mul_f64 v[2:3], v[2:3], s[0:1]
	v_add_co_u32 v4, vcc_lo, v16, s6
	v_add_co_ci_u32_e32 v5, vcc_lo, s3, v17, vcc_lo
	v_add_co_u32 v6, vcc_lo, 0x1000, v22
	v_add_co_ci_u32_e32 v7, vcc_lo, 0, v23, vcc_lo
	;; [unrolled: 2-line block ×3, first 2 shown]
	global_store_dwordx4 v[4:5], v[0:3], off
	global_load_dwordx4 v[0:3], v[6:7], off offset:1280
	v_add_co_u32 v4, vcc_lo, 0x1800, v22
	v_add_co_ci_u32_e32 v5, vcc_lo, 0, v23, vcc_lo
	s_waitcnt vmcnt(0) lgkmcnt(0)
	v_mul_f64 v[6:7], v[10:11], v[2:3]
	v_mul_f64 v[2:3], v[8:9], v[2:3]
	v_fma_f64 v[6:7], v[8:9], v[0:1], v[6:7]
	v_fma_f64 v[2:3], v[0:1], v[10:11], -v[2:3]
	v_mul_f64 v[0:1], v[6:7], s[0:1]
	v_mul_f64 v[2:3], v[2:3], s[0:1]
	global_store_dwordx4 v[16:17], v[0:3], off
	global_load_dwordx4 v[0:3], v[4:5], off offset:1024
	ds_read_b128 v[4:7], v118 offset:7168
	ds_read_b128 v[8:11], v118 offset:8960
	s_waitcnt vmcnt(0) lgkmcnt(1)
	v_mul_f64 v[18:19], v[6:7], v[2:3]
	v_mul_f64 v[2:3], v[4:5], v[2:3]
	v_fma_f64 v[4:5], v[4:5], v[0:1], v[18:19]
	v_fma_f64 v[2:3], v[0:1], v[6:7], -v[2:3]
	v_mul_f64 v[0:1], v[4:5], s[0:1]
	v_mul_f64 v[2:3], v[2:3], s[0:1]
	v_add_co_u32 v4, vcc_lo, v16, s6
	v_add_co_ci_u32_e32 v5, vcc_lo, s3, v17, vcc_lo
	v_add_co_u32 v6, vcc_lo, 0x2000, v22
	v_add_co_ci_u32_e32 v7, vcc_lo, 0, v23, vcc_lo
	;; [unrolled: 2-line block ×3, first 2 shown]
	global_store_dwordx4 v[4:5], v[0:3], off
	global_load_dwordx4 v[0:3], v[6:7], off offset:768
	v_add_co_u32 v4, vcc_lo, 0x2800, v22
	v_add_co_ci_u32_e32 v5, vcc_lo, 0, v23, vcc_lo
	s_waitcnt vmcnt(0) lgkmcnt(0)
	v_mul_f64 v[6:7], v[10:11], v[2:3]
	v_mul_f64 v[2:3], v[8:9], v[2:3]
	v_fma_f64 v[6:7], v[8:9], v[0:1], v[6:7]
	v_fma_f64 v[2:3], v[0:1], v[10:11], -v[2:3]
	v_mul_f64 v[0:1], v[6:7], s[0:1]
	v_mul_f64 v[2:3], v[2:3], s[0:1]
	global_store_dwordx4 v[16:17], v[0:3], off
	global_load_dwordx4 v[0:3], v[4:5], off offset:512
	ds_read_b128 v[4:7], v118 offset:10752
	ds_read_b128 v[8:11], v118 offset:12544
	buffer_load_dword v24, off, s[60:63], 0 offset:532 ; 4-byte Folded Reload
	s_waitcnt vmcnt(1) lgkmcnt(1)
	v_mul_f64 v[18:19], v[6:7], v[2:3]
	v_mul_f64 v[2:3], v[4:5], v[2:3]
	v_fma_f64 v[4:5], v[4:5], v[0:1], v[18:19]
	v_fma_f64 v[2:3], v[0:1], v[6:7], -v[2:3]
	v_mul_f64 v[0:1], v[4:5], s[0:1]
	v_mul_f64 v[2:3], v[2:3], s[0:1]
	v_add_co_u32 v4, vcc_lo, v16, s6
	v_add_co_ci_u32_e32 v5, vcc_lo, s3, v17, vcc_lo
	v_add_co_u32 v6, vcc_lo, 0x3000, v22
	v_add_co_ci_u32_e32 v7, vcc_lo, 0, v23, vcc_lo
	;; [unrolled: 2-line block ×3, first 2 shown]
	global_store_dwordx4 v[4:5], v[0:3], off
	global_load_dwordx4 v[0:3], v[6:7], off offset:256
	s_waitcnt vmcnt(1)
	v_lshlrev_b32_e32 v4, 4, v24
	s_waitcnt vmcnt(0) lgkmcnt(0)
	v_mul_f64 v[6:7], v[10:11], v[2:3]
	v_mul_f64 v[2:3], v[8:9], v[2:3]
	v_fma_f64 v[6:7], v[8:9], v[0:1], v[6:7]
	v_fma_f64 v[2:3], v[0:1], v[10:11], -v[2:3]
	v_mul_f64 v[0:1], v[6:7], s[0:1]
	v_mul_f64 v[2:3], v[2:3], s[0:1]
	global_store_dwordx4 v[16:17], v[0:3], off
	global_load_dwordx4 v[0:3], v4, s[12:13]
	ds_read_b128 v[4:7], v118 offset:14336
	ds_read_b128 v[8:11], v118 offset:16128
	v_mad_u64_u32 v[16:17], null, 0xe00, s4, v[16:17]
	s_waitcnt vmcnt(0) lgkmcnt(1)
	v_mul_f64 v[18:19], v[6:7], v[2:3]
	v_mul_f64 v[2:3], v[4:5], v[2:3]
	v_fma_f64 v[4:5], v[4:5], v[0:1], v[18:19]
	v_fma_f64 v[2:3], v[0:1], v[6:7], -v[2:3]
	v_mad_u64_u32 v[6:7], null, s4, v24, 0
	v_mov_b32_e32 v0, v7
	v_mad_u64_u32 v[18:19], null, s5, v24, v[0:1]
	v_mul_f64 v[0:1], v[4:5], s[0:1]
	v_mul_f64 v[2:3], v[2:3], s[0:1]
	v_mov_b32_e32 v7, v18
	v_lshlrev_b64 v[4:5], 4, v[6:7]
	v_add_co_u32 v4, vcc_lo, v20, v4
	v_add_co_ci_u32_e32 v5, vcc_lo, v21, v5, vcc_lo
	v_add_co_u32 v6, vcc_lo, 0x3800, v22
	v_add_co_ci_u32_e32 v7, vcc_lo, 0, v23, vcc_lo
	global_store_dwordx4 v[4:5], v[0:3], off
	global_load_dwordx4 v[0:3], v[6:7], off offset:1792
	s_waitcnt vmcnt(0) lgkmcnt(0)
	v_mul_f64 v[4:5], v[10:11], v[2:3]
	v_mul_f64 v[2:3], v[8:9], v[2:3]
	v_fma_f64 v[4:5], v[8:9], v[0:1], v[4:5]
	v_fma_f64 v[2:3], v[0:1], v[10:11], -v[2:3]
	v_mul_f64 v[0:1], v[4:5], s[0:1]
	v_mul_f64 v[2:3], v[2:3], s[0:1]
	v_mov_b32_e32 v4, v17
	v_mad_u64_u32 v[4:5], null, 0xe00, s5, v[4:5]
	v_mov_b32_e32 v17, v4
	v_add_co_u32 v4, vcc_lo, 0x4000, v22
	v_add_co_ci_u32_e32 v5, vcc_lo, 0, v23, vcc_lo
	global_store_dwordx4 v[16:17], v[0:3], off
	global_load_dwordx4 v[0:3], v[4:5], off offset:1536
	ds_read_b128 v[4:7], v118 offset:17920
	ds_read_b128 v[8:11], v118 offset:19712
	s_waitcnt vmcnt(0) lgkmcnt(1)
	v_mul_f64 v[18:19], v[6:7], v[2:3]
	v_mul_f64 v[2:3], v[4:5], v[2:3]
	v_fma_f64 v[4:5], v[4:5], v[0:1], v[18:19]
	v_fma_f64 v[2:3], v[0:1], v[6:7], -v[2:3]
	v_mul_f64 v[0:1], v[4:5], s[0:1]
	v_mul_f64 v[2:3], v[2:3], s[0:1]
	v_add_co_u32 v4, vcc_lo, v16, s6
	v_add_co_ci_u32_e32 v5, vcc_lo, s3, v17, vcc_lo
	v_add_co_u32 v6, vcc_lo, 0x4800, v22
	v_add_co_ci_u32_e32 v7, vcc_lo, 0, v23, vcc_lo
	;; [unrolled: 2-line block ×3, first 2 shown]
	global_store_dwordx4 v[4:5], v[0:3], off
	global_load_dwordx4 v[0:3], v[6:7], off offset:1280
	v_add_co_u32 v4, vcc_lo, 0x5000, v22
	v_add_co_ci_u32_e32 v5, vcc_lo, 0, v23, vcc_lo
	s_waitcnt vmcnt(0) lgkmcnt(0)
	v_mul_f64 v[6:7], v[10:11], v[2:3]
	v_mul_f64 v[2:3], v[8:9], v[2:3]
	v_fma_f64 v[6:7], v[8:9], v[0:1], v[6:7]
	v_fma_f64 v[2:3], v[0:1], v[10:11], -v[2:3]
	v_mul_f64 v[0:1], v[6:7], s[0:1]
	v_mul_f64 v[2:3], v[2:3], s[0:1]
	global_store_dwordx4 v[16:17], v[0:3], off
	global_load_dwordx4 v[0:3], v[4:5], off offset:1024
	ds_read_b128 v[4:7], v118 offset:21504
	ds_read_b128 v[8:11], v118 offset:23296
	s_waitcnt vmcnt(0) lgkmcnt(1)
	v_mul_f64 v[18:19], v[6:7], v[2:3]
	v_mul_f64 v[2:3], v[4:5], v[2:3]
	v_fma_f64 v[4:5], v[4:5], v[0:1], v[18:19]
	v_fma_f64 v[2:3], v[0:1], v[6:7], -v[2:3]
	v_mul_f64 v[0:1], v[4:5], s[0:1]
	v_mul_f64 v[2:3], v[2:3], s[0:1]
	v_add_co_u32 v4, vcc_lo, v16, s6
	v_add_co_ci_u32_e32 v5, vcc_lo, s3, v17, vcc_lo
	v_add_co_u32 v6, vcc_lo, 0x5800, v22
	v_add_co_ci_u32_e32 v7, vcc_lo, 0, v23, vcc_lo
	;; [unrolled: 2-line block ×3, first 2 shown]
	global_store_dwordx4 v[4:5], v[0:3], off
	global_load_dwordx4 v[0:3], v[6:7], off offset:768
	v_add_co_u32 v4, vcc_lo, 0x6000, v22
	v_add_co_ci_u32_e32 v5, vcc_lo, 0, v23, vcc_lo
	s_waitcnt vmcnt(0) lgkmcnt(0)
	v_mul_f64 v[6:7], v[10:11], v[2:3]
	v_mul_f64 v[2:3], v[8:9], v[2:3]
	v_fma_f64 v[6:7], v[8:9], v[0:1], v[6:7]
	v_fma_f64 v[2:3], v[0:1], v[10:11], -v[2:3]
	v_mul_f64 v[0:1], v[6:7], s[0:1]
	v_mul_f64 v[2:3], v[2:3], s[0:1]
	global_store_dwordx4 v[16:17], v[0:3], off
	global_load_dwordx4 v[0:3], v[4:5], off offset:512
	ds_read_b128 v[4:7], v118 offset:25088
	ds_read_b128 v[8:11], v118 offset:26880
	s_waitcnt vmcnt(0) lgkmcnt(1)
	v_mul_f64 v[18:19], v[6:7], v[2:3]
	v_mul_f64 v[2:3], v[4:5], v[2:3]
	v_fma_f64 v[4:5], v[4:5], v[0:1], v[18:19]
	v_fma_f64 v[2:3], v[0:1], v[6:7], -v[2:3]
	v_mul_f64 v[0:1], v[4:5], s[0:1]
	v_mul_f64 v[2:3], v[2:3], s[0:1]
	v_add_co_u32 v4, vcc_lo, v16, s6
	v_add_co_ci_u32_e32 v5, vcc_lo, s3, v17, vcc_lo
	v_add_co_u32 v6, vcc_lo, 0x6800, v22
	v_add_co_ci_u32_e32 v7, vcc_lo, 0, v23, vcc_lo
	global_store_dwordx4 v[4:5], v[0:3], off
	global_load_dwordx4 v[0:3], v[6:7], off offset:256
	v_add_co_u32 v4, vcc_lo, v4, s6
	v_add_co_ci_u32_e32 v5, vcc_lo, s3, v5, vcc_lo
	s_waitcnt vmcnt(0) lgkmcnt(0)
	v_mul_f64 v[6:7], v[10:11], v[2:3]
	v_mul_f64 v[2:3], v[8:9], v[2:3]
	v_fma_f64 v[6:7], v[8:9], v[0:1], v[6:7]
	buffer_load_dword v8, off, s[60:63], 0 offset:528 ; 4-byte Folded Reload
	v_fma_f64 v[2:3], v[0:1], v[10:11], -v[2:3]
	v_mul_f64 v[0:1], v[6:7], s[0:1]
	v_mul_f64 v[2:3], v[2:3], s[0:1]
	global_store_dwordx4 v[4:5], v[0:3], off
	s_waitcnt vmcnt(0)
	v_lshlrev_b32_e32 v6, 4, v8
	global_load_dwordx4 v[0:3], v6, s[12:13]
	v_mad_u64_u32 v[6:7], null, s4, v8, 0
	s_waitcnt vmcnt(0)
	v_mul_f64 v[4:5], v[14:15], v[2:3]
	v_mul_f64 v[2:3], v[12:13], v[2:3]
	v_fma_f64 v[4:5], v[12:13], v[0:1], v[4:5]
	v_fma_f64 v[2:3], v[0:1], v[14:15], -v[2:3]
	v_mov_b32_e32 v0, v7
	v_mad_u64_u32 v[7:8], null, s5, v8, v[0:1]
	v_mul_f64 v[0:1], v[4:5], s[0:1]
	v_mul_f64 v[2:3], v[2:3], s[0:1]
	v_lshlrev_b64 v[4:5], 4, v[6:7]
	v_add_co_u32 v4, vcc_lo, v20, v4
	v_add_co_ci_u32_e32 v5, vcc_lo, v21, v5, vcc_lo
	global_store_dwordx4 v[4:5], v[0:3], off
.LBB0_23:
	s_endpgm
	.section	.rodata,"a",@progbits
	.p2align	6, 0x0
	.amdhsa_kernel bluestein_single_fwd_len1904_dim1_dp_op_CI_CI
		.amdhsa_group_segment_fixed_size 30464
		.amdhsa_private_segment_fixed_size 652
		.amdhsa_kernarg_size 104
		.amdhsa_user_sgpr_count 6
		.amdhsa_user_sgpr_private_segment_buffer 1
		.amdhsa_user_sgpr_dispatch_ptr 0
		.amdhsa_user_sgpr_queue_ptr 0
		.amdhsa_user_sgpr_kernarg_segment_ptr 1
		.amdhsa_user_sgpr_dispatch_id 0
		.amdhsa_user_sgpr_flat_scratch_init 0
		.amdhsa_user_sgpr_private_segment_size 0
		.amdhsa_wavefront_size32 1
		.amdhsa_uses_dynamic_stack 0
		.amdhsa_system_sgpr_private_segment_wavefront_offset 1
		.amdhsa_system_sgpr_workgroup_id_x 1
		.amdhsa_system_sgpr_workgroup_id_y 0
		.amdhsa_system_sgpr_workgroup_id_z 0
		.amdhsa_system_sgpr_workgroup_info 0
		.amdhsa_system_vgpr_workitem_id 0
		.amdhsa_next_free_vgpr 256
		.amdhsa_next_free_sgpr 64
		.amdhsa_reserve_vcc 1
		.amdhsa_reserve_flat_scratch 0
		.amdhsa_float_round_mode_32 0
		.amdhsa_float_round_mode_16_64 0
		.amdhsa_float_denorm_mode_32 3
		.amdhsa_float_denorm_mode_16_64 3
		.amdhsa_dx10_clamp 1
		.amdhsa_ieee_mode 1
		.amdhsa_fp16_overflow 0
		.amdhsa_workgroup_processor_mode 1
		.amdhsa_memory_ordered 1
		.amdhsa_forward_progress 0
		.amdhsa_shared_vgpr_count 0
		.amdhsa_exception_fp_ieee_invalid_op 0
		.amdhsa_exception_fp_denorm_src 0
		.amdhsa_exception_fp_ieee_div_zero 0
		.amdhsa_exception_fp_ieee_overflow 0
		.amdhsa_exception_fp_ieee_underflow 0
		.amdhsa_exception_fp_ieee_inexact 0
		.amdhsa_exception_int_div_zero 0
	.end_amdhsa_kernel
	.text
.Lfunc_end0:
	.size	bluestein_single_fwd_len1904_dim1_dp_op_CI_CI, .Lfunc_end0-bluestein_single_fwd_len1904_dim1_dp_op_CI_CI
                                        ; -- End function
	.section	.AMDGPU.csdata,"",@progbits
; Kernel info:
; codeLenInByte = 35224
; NumSgprs: 66
; NumVgprs: 256
; ScratchSize: 652
; MemoryBound: 0
; FloatMode: 240
; IeeeMode: 1
; LDSByteSize: 30464 bytes/workgroup (compile time only)
; SGPRBlocks: 8
; VGPRBlocks: 31
; NumSGPRsForWavesPerEU: 66
; NumVGPRsForWavesPerEU: 256
; Occupancy: 4
; WaveLimiterHint : 1
; COMPUTE_PGM_RSRC2:SCRATCH_EN: 1
; COMPUTE_PGM_RSRC2:USER_SGPR: 6
; COMPUTE_PGM_RSRC2:TRAP_HANDLER: 0
; COMPUTE_PGM_RSRC2:TGID_X_EN: 1
; COMPUTE_PGM_RSRC2:TGID_Y_EN: 0
; COMPUTE_PGM_RSRC2:TGID_Z_EN: 0
; COMPUTE_PGM_RSRC2:TIDIG_COMP_CNT: 0
	.text
	.p2alignl 6, 3214868480
	.fill 48, 4, 3214868480
	.type	__hip_cuid_81f0590e9e5ba706,@object ; @__hip_cuid_81f0590e9e5ba706
	.section	.bss,"aw",@nobits
	.globl	__hip_cuid_81f0590e9e5ba706
__hip_cuid_81f0590e9e5ba706:
	.byte	0                               ; 0x0
	.size	__hip_cuid_81f0590e9e5ba706, 1

	.ident	"AMD clang version 19.0.0git (https://github.com/RadeonOpenCompute/llvm-project roc-6.4.0 25133 c7fe45cf4b819c5991fe208aaa96edf142730f1d)"
	.section	".note.GNU-stack","",@progbits
	.addrsig
	.addrsig_sym __hip_cuid_81f0590e9e5ba706
	.amdgpu_metadata
---
amdhsa.kernels:
  - .args:
      - .actual_access:  read_only
        .address_space:  global
        .offset:         0
        .size:           8
        .value_kind:     global_buffer
      - .actual_access:  read_only
        .address_space:  global
        .offset:         8
        .size:           8
        .value_kind:     global_buffer
      - .actual_access:  read_only
        .address_space:  global
        .offset:         16
        .size:           8
        .value_kind:     global_buffer
      - .actual_access:  read_only
        .address_space:  global
        .offset:         24
        .size:           8
        .value_kind:     global_buffer
      - .actual_access:  read_only
        .address_space:  global
        .offset:         32
        .size:           8
        .value_kind:     global_buffer
      - .offset:         40
        .size:           8
        .value_kind:     by_value
      - .address_space:  global
        .offset:         48
        .size:           8
        .value_kind:     global_buffer
      - .address_space:  global
        .offset:         56
        .size:           8
        .value_kind:     global_buffer
      - .address_space:  global
        .offset:         64
        .size:           8
        .value_kind:     global_buffer
      - .address_space:  global
        .offset:         72
        .size:           8
        .value_kind:     global_buffer
      - .offset:         80
        .size:           4
        .value_kind:     by_value
      - .address_space:  global
        .offset:         88
        .size:           8
        .value_kind:     global_buffer
      - .address_space:  global
        .offset:         96
        .size:           8
        .value_kind:     global_buffer
    .group_segment_fixed_size: 30464
    .kernarg_segment_align: 8
    .kernarg_segment_size: 104
    .language:       OpenCL C
    .language_version:
      - 2
      - 0
    .max_flat_workgroup_size: 119
    .name:           bluestein_single_fwd_len1904_dim1_dp_op_CI_CI
    .private_segment_fixed_size: 652
    .sgpr_count:     66
    .sgpr_spill_count: 0
    .symbol:         bluestein_single_fwd_len1904_dim1_dp_op_CI_CI.kd
    .uniform_work_group_size: 1
    .uses_dynamic_stack: false
    .vgpr_count:     256
    .vgpr_spill_count: 170
    .wavefront_size: 32
    .workgroup_processor_mode: 1
amdhsa.target:   amdgcn-amd-amdhsa--gfx1030
amdhsa.version:
  - 1
  - 2
...

	.end_amdgpu_metadata
